;; amdgpu-corpus repo=ROCm/rocFFT kind=compiled arch=gfx906 opt=O3
	.text
	.amdgcn_target "amdgcn-amd-amdhsa--gfx906"
	.amdhsa_code_object_version 6
	.protected	bluestein_single_fwd_len715_dim1_dp_op_CI_CI ; -- Begin function bluestein_single_fwd_len715_dim1_dp_op_CI_CI
	.globl	bluestein_single_fwd_len715_dim1_dp_op_CI_CI
	.p2align	8
	.type	bluestein_single_fwd_len715_dim1_dp_op_CI_CI,@function
bluestein_single_fwd_len715_dim1_dp_op_CI_CI: ; @bluestein_single_fwd_len715_dim1_dp_op_CI_CI
; %bb.0:
	s_mov_b64 s[54:55], s[2:3]
	v_mul_u32_u24_e32 v1, 0x3f1, v0
	s_mov_b64 s[52:53], s[0:1]
	s_load_dwordx4 s[0:3], s[4:5], 0x28
	v_lshrrev_b32_e32 v1, 16, v1
	s_add_u32 s52, s52, s7
	v_mad_u64_u32 v[213:214], s[6:7], s6, 3, v[1:2]
	v_mov_b32_e32 v214, 0
	s_addc_u32 s53, s53, 0
	s_waitcnt lgkmcnt(0)
	v_cmp_gt_u64_e32 vcc, s[0:1], v[213:214]
	s_and_saveexec_b64 s[0:1], vcc
	s_cbranch_execz .LBB0_23
; %bb.1:
	s_mov_b32 s0, 0xaaaaaaab
	v_mul_hi_u32 v2, v213, s0
	v_mul_lo_u16_e32 v1, 0x41, v1
	s_load_dwordx2 s[14:15], s[4:5], 0x0
	s_load_dwordx2 s[12:13], s[4:5], 0x38
	v_sub_u16_e32 v211, v0, v1
	v_lshrrev_b32_e32 v0, 1, v2
	v_lshl_add_u32 v0, v0, 1, v0
	v_sub_u32_e32 v0, v213, v0
	v_mul_u32_u24_e32 v205, 0x2cb, v0
	v_cmp_gt_u16_e64 s[0:1], 55, v211
	v_lshlrev_b32_e32 v212, 4, v211
	v_lshlrev_b32_e32 v215, 4, v205
	s_and_saveexec_b64 s[6:7], s[0:1]
	s_cbranch_execz .LBB0_3
; %bb.2:
	s_load_dwordx2 s[8:9], s[4:5], 0x18
	s_waitcnt lgkmcnt(0)
	s_load_dwordx4 s[8:11], s[8:9], 0x0
	s_waitcnt lgkmcnt(0)
	v_mad_u64_u32 v[0:1], s[16:17], s10, v213, 0
	v_mad_u64_u32 v[2:3], s[16:17], s8, v211, 0
	;; [unrolled: 1-line block ×4, first 2 shown]
	v_mov_b32_e32 v1, v4
	v_lshlrev_b64 v[0:1], 4, v[0:1]
	v_mov_b32_e32 v3, v5
	v_mov_b32_e32 v6, s3
	v_lshlrev_b64 v[2:3], 4, v[2:3]
	v_add_co_u32_e32 v0, vcc, s2, v0
	v_addc_co_u32_e32 v1, vcc, v6, v1, vcc
	v_add_co_u32_e32 v16, vcc, v0, v2
	v_addc_co_u32_e32 v17, vcc, v1, v3, vcc
	v_mov_b32_e32 v0, s15
	v_add_co_u32_e32 v86, vcc, s14, v212
	s_mul_i32 s2, s9, 0x370
	s_mul_hi_u32 s3, s8, 0x370
	v_addc_co_u32_e32 v87, vcc, 0, v0, vcc
	s_add_i32 s2, s3, s2
	s_mul_i32 s3, s8, 0x370
	v_mov_b32_e32 v0, s2
	v_add_co_u32_e32 v18, vcc, s3, v16
	v_addc_co_u32_e32 v19, vcc, v17, v0, vcc
	global_load_dwordx4 v[0:3], v[16:17], off
	global_load_dwordx4 v[4:7], v[18:19], off
	global_load_dwordx4 v[8:11], v212, s[14:15]
	global_load_dwordx4 v[12:15], v212, s[14:15] offset:880
	v_mov_b32_e32 v16, s2
	v_add_co_u32_e32 v32, vcc, s3, v18
	v_addc_co_u32_e32 v33, vcc, v19, v16, vcc
	v_add_co_u32_e32 v34, vcc, s3, v32
	v_addc_co_u32_e32 v35, vcc, v33, v16, vcc
	global_load_dwordx4 v[16:19], v[32:33], off
	global_load_dwordx4 v[20:23], v[34:35], off
	global_load_dwordx4 v[24:27], v212, s[14:15] offset:1760
	global_load_dwordx4 v[28:31], v212, s[14:15] offset:2640
	v_mov_b32_e32 v32, s2
	v_add_co_u32_e32 v40, vcc, s3, v34
	v_addc_co_u32_e32 v41, vcc, v35, v32, vcc
	v_mov_b32_e32 v42, s2
	v_add_co_u32_e32 v44, vcc, s3, v40
	global_load_dwordx4 v[32:35], v[40:41], off
	global_load_dwordx4 v[36:39], v212, s[14:15] offset:3520
	v_addc_co_u32_e32 v45, vcc, v41, v42, vcc
	s_movk_i32 s8, 0x1000
	v_add_co_u32_e32 v80, vcc, s8, v86
	v_addc_co_u32_e32 v81, vcc, 0, v87, vcc
	v_mov_b32_e32 v46, s2
	v_add_co_u32_e32 v56, vcc, s3, v44
	v_addc_co_u32_e32 v57, vcc, v45, v46, vcc
	v_mov_b32_e32 v58, s2
	;; [unrolled: 3-line block ×4, first 2 shown]
	v_add_co_u32_e32 v82, vcc, s3, v72
	v_addc_co_u32_e32 v83, vcc, v73, v74, vcc
	global_load_dwordx4 v[40:43], v[44:45], off
	s_nop 0
	global_load_dwordx4 v[44:47], v[56:57], off
	global_load_dwordx4 v[48:51], v[80:81], off offset:304
	global_load_dwordx4 v[52:55], v[80:81], off offset:1184
	v_add_co_u32_e32 v84, vcc, s3, v82
	global_load_dwordx4 v[56:59], v[60:61], off
	s_nop 0
	global_load_dwordx4 v[60:63], v[72:73], off
	global_load_dwordx4 v[64:67], v[80:81], off offset:2064
	global_load_dwordx4 v[68:71], v[80:81], off offset:2944
	s_nop 0
	global_load_dwordx4 v[72:75], v[82:83], off
	global_load_dwordx4 v[76:79], v[80:81], off offset:3824
	v_mov_b32_e32 v80, s2
	v_addc_co_u32_e32 v85, vcc, v83, v80, vcc
	s_movk_i32 s8, 0x2000
	v_add_co_u32_e32 v104, vcc, s8, v86
	v_addc_co_u32_e32 v105, vcc, 0, v87, vcc
	v_mov_b32_e32 v86, s2
	v_add_co_u32_e32 v96, vcc, s3, v84
	v_addc_co_u32_e32 v97, vcc, v85, v86, vcc
	global_load_dwordx4 v[80:83], v[84:85], off
	v_mov_b32_e32 v98, s2
	v_add_co_u32_e32 v106, vcc, s3, v96
	global_load_dwordx4 v[84:87], v[96:97], off
	global_load_dwordx4 v[88:91], v[104:105], off offset:608
	global_load_dwordx4 v[92:95], v[104:105], off offset:1488
	v_addc_co_u32_e32 v107, vcc, v97, v98, vcc
	global_load_dwordx4 v[96:99], v[106:107], off
	global_load_dwordx4 v[100:103], v[104:105], off offset:2368
	s_waitcnt vmcnt(23)
	v_mul_f64 v[104:105], v[2:3], v[10:11]
	v_mul_f64 v[10:11], v[0:1], v[10:11]
	v_fma_f64 v[0:1], v[0:1], v[8:9], v[104:105]
	v_fma_f64 v[2:3], v[2:3], v[8:9], -v[10:11]
	s_waitcnt vmcnt(22)
	v_mul_f64 v[8:9], v[6:7], v[14:15]
	v_mul_f64 v[10:11], v[4:5], v[14:15]
	s_waitcnt vmcnt(19)
	v_mul_f64 v[14:15], v[18:19], v[26:27]
	v_mul_f64 v[26:27], v[16:17], v[26:27]
	;; [unrolled: 3-line block ×3, first 2 shown]
	v_fma_f64 v[4:5], v[4:5], v[12:13], v[8:9]
	v_fma_f64 v[6:7], v[6:7], v[12:13], -v[10:11]
	s_waitcnt vmcnt(16)
	v_mul_f64 v[106:107], v[34:35], v[38:39]
	v_mul_f64 v[38:39], v[32:33], v[38:39]
	v_fma_f64 v[8:9], v[16:17], v[24:25], v[14:15]
	v_fma_f64 v[10:11], v[18:19], v[24:25], -v[26:27]
	v_fma_f64 v[12:13], v[20:21], v[28:29], v[104:105]
	v_fma_f64 v[14:15], v[22:23], v[28:29], -v[30:31]
	v_lshl_add_u32 v20, v211, 4, v215
	ds_write_b128 v20, v[0:3]
	v_fma_f64 v[16:17], v[32:33], v[36:37], v[106:107]
	v_fma_f64 v[18:19], v[34:35], v[36:37], -v[38:39]
	v_add_u32_e32 v32, v215, v212
	ds_write_b128 v32, v[4:7] offset:880
	ds_write_b128 v32, v[8:11] offset:1760
	;; [unrolled: 1-line block ×4, first 2 shown]
	s_waitcnt vmcnt(13)
	v_mul_f64 v[0:1], v[42:43], v[50:51]
	v_mul_f64 v[2:3], v[40:41], v[50:51]
	s_waitcnt vmcnt(12)
	v_mul_f64 v[4:5], v[46:47], v[54:55]
	v_mul_f64 v[6:7], v[44:45], v[54:55]
	;; [unrolled: 3-line block ×5, first 2 shown]
	v_fma_f64 v[0:1], v[40:41], v[48:49], v[0:1]
	v_fma_f64 v[2:3], v[42:43], v[48:49], -v[2:3]
	v_fma_f64 v[4:5], v[44:45], v[52:53], v[4:5]
	v_fma_f64 v[6:7], v[46:47], v[52:53], -v[6:7]
	v_fma_f64 v[8:9], v[56:57], v[64:65], v[8:9]
	v_fma_f64 v[10:11], v[58:59], v[64:65], -v[10:11]
	v_fma_f64 v[12:13], v[60:61], v[68:69], v[12:13]
	v_fma_f64 v[14:15], v[62:63], v[68:69], -v[14:15]
	v_fma_f64 v[16:17], v[72:73], v[76:77], v[16:17]
	v_fma_f64 v[18:19], v[74:75], v[76:77], -v[18:19]
	s_waitcnt vmcnt(3)
	v_mul_f64 v[20:21], v[82:83], v[90:91]
	v_mul_f64 v[22:23], v[80:81], v[90:91]
	s_waitcnt vmcnt(2)
	v_mul_f64 v[24:25], v[86:87], v[94:95]
	v_mul_f64 v[26:27], v[84:85], v[94:95]
	;; [unrolled: 3-line block ×3, first 2 shown]
	v_fma_f64 v[20:21], v[80:81], v[88:89], v[20:21]
	v_fma_f64 v[22:23], v[82:83], v[88:89], -v[22:23]
	v_fma_f64 v[24:25], v[84:85], v[92:93], v[24:25]
	v_fma_f64 v[26:27], v[86:87], v[92:93], -v[26:27]
	;; [unrolled: 2-line block ×3, first 2 shown]
	ds_write_b128 v32, v[0:3] offset:4400
	ds_write_b128 v32, v[4:7] offset:5280
	ds_write_b128 v32, v[8:11] offset:6160
	ds_write_b128 v32, v[12:15] offset:7040
	ds_write_b128 v32, v[16:19] offset:7920
	ds_write_b128 v32, v[20:23] offset:8800
	ds_write_b128 v32, v[24:27] offset:9680
	ds_write_b128 v32, v[28:31] offset:10560
.LBB0_3:
	s_or_b64 exec, exec, s[6:7]
	s_waitcnt lgkmcnt(0)
	s_barrier
	s_waitcnt lgkmcnt(0)
                                        ; implicit-def: $vgpr0_vgpr1
                                        ; implicit-def: $vgpr4_vgpr5
                                        ; implicit-def: $vgpr8_vgpr9
                                        ; implicit-def: $vgpr12_vgpr13
                                        ; implicit-def: $vgpr16_vgpr17
                                        ; implicit-def: $vgpr20_vgpr21
                                        ; implicit-def: $vgpr24_vgpr25
                                        ; implicit-def: $vgpr28_vgpr29
                                        ; implicit-def: $vgpr32_vgpr33
                                        ; implicit-def: $vgpr36_vgpr37
                                        ; implicit-def: $vgpr40_vgpr41
                                        ; implicit-def: $vgpr44_vgpr45
                                        ; implicit-def: $vgpr60_vgpr61
	s_and_saveexec_b64 s[2:3], s[0:1]
	s_cbranch_execz .LBB0_5
; %bb.4:
	v_lshl_add_u32 v48, v205, 4, v212
	ds_read_b128 v[0:3], v48
	ds_read_b128 v[4:7], v48 offset:880
	ds_read_b128 v[8:11], v48 offset:1760
	;; [unrolled: 1-line block ×12, first 2 shown]
.LBB0_5:
	s_or_b64 exec, exec, s[2:3]
	s_waitcnt lgkmcnt(0)
	v_add_f64 v[144:145], v[6:7], -v[62:63]
	v_add_f64 v[132:133], v[4:5], -v[60:61]
	s_mov_b32 s22, 0x4267c47c
	s_mov_b32 s16, 0x42a4c3d2
	;; [unrolled: 1-line block ×6, first 2 shown]
	v_add_f64 v[114:115], v[4:5], v[60:61]
	v_add_f64 v[158:159], v[6:7], v[62:63]
	v_mul_f64 v[68:69], v[144:145], s[22:23]
	v_mul_f64 v[70:71], v[132:133], s[22:23]
	;; [unrolled: 1-line block ×6, first 2 shown]
	v_add_f64 v[162:163], v[10:11], -v[46:47]
	v_add_f64 v[148:149], v[8:9], -v[44:45]
	s_mov_b32 s2, 0xe00740e9
	s_mov_b32 s10, 0x1ea71119
	;; [unrolled: 1-line block ×10, first 2 shown]
	v_fma_f64 v[48:49], v[114:115], s[2:3], v[68:69]
	v_fma_f64 v[50:51], v[158:159], s[2:3], -v[70:71]
	v_fma_f64 v[52:53], v[114:115], s[10:11], v[72:73]
	v_fma_f64 v[54:55], v[158:159], s[10:11], -v[90:91]
	;; [unrolled: 2-line block ×3, first 2 shown]
	v_add_f64 v[136:137], v[8:9], v[44:45]
	v_add_f64 v[175:176], v[10:11], v[46:47]
	v_mul_f64 v[74:75], v[162:163], s[16:17]
	v_mul_f64 v[76:77], v[148:149], s[16:17]
	v_mul_f64 v[80:81], v[162:163], s[30:31]
	v_mul_f64 v[86:87], v[148:149], s[30:31]
	v_mul_f64 v[92:93], v[162:163], s[26:27]
	v_mul_f64 v[130:131], v[148:149], s[26:27]
	v_add_f64 v[187:188], v[14:15], -v[42:43]
	v_add_f64 v[165:166], v[12:13], -v[40:41]
	s_mov_b32 s28, 0xb2365da1
	s_mov_b32 s24, 0x93053d00
	;; [unrolled: 1-line block ×6, first 2 shown]
	v_add_f64 v[48:49], v[0:1], v[48:49]
	v_add_f64 v[50:51], v[2:3], v[50:51]
	;; [unrolled: 1-line block ×6, first 2 shown]
	v_fma_f64 v[64:65], v[136:137], s[10:11], v[74:75]
	v_fma_f64 v[66:67], v[175:176], s[10:11], -v[76:77]
	v_fma_f64 v[88:89], v[136:137], s[28:29], v[80:81]
	v_fma_f64 v[94:95], v[175:176], s[28:29], -v[86:87]
	;; [unrolled: 2-line block ×3, first 2 shown]
	v_add_f64 v[154:155], v[12:13], v[40:41]
	v_add_f64 v[177:178], v[14:15], v[42:43]
	v_mul_f64 v[82:83], v[187:188], s[20:21]
	v_mul_f64 v[84:85], v[165:166], s[20:21]
	v_add_f64 v[189:190], v[18:19], -v[38:39]
	v_add_f64 v[179:180], v[16:17], -v[36:37]
	v_mul_f64 v[102:103], v[187:188], s[40:41]
	v_add_f64 v[48:49], v[64:65], v[48:49]
	v_add_f64 v[50:51], v[66:67], v[50:51]
	;; [unrolled: 1-line block ×6, first 2 shown]
	v_fma_f64 v[64:65], v[154:155], s[18:19], v[82:83]
	v_fma_f64 v[66:67], v[177:178], s[18:19], -v[84:85]
	v_mul_f64 v[88:89], v[187:188], s[26:27]
	v_mul_f64 v[98:99], v[165:166], s[26:27]
	;; [unrolled: 1-line block ×3, first 2 shown]
	v_add_f64 v[160:161], v[16:17], v[36:37]
	v_add_f64 v[181:182], v[18:19], v[38:39]
	v_mul_f64 v[94:95], v[189:190], s[30:31]
	v_mul_f64 v[96:97], v[179:180], s[30:31]
	v_fma_f64 v[100:101], v[154:155], s[28:29], v[102:103]
	s_mov_b32 s36, 0x24c2f84
	s_mov_b32 s37, 0x3fe5384d
	;; [unrolled: 1-line block ×4, first 2 shown]
	v_add_f64 v[48:49], v[64:65], v[48:49]
	v_add_f64 v[50:51], v[66:67], v[50:51]
	v_fma_f64 v[64:65], v[154:155], s[24:25], v[88:89]
	v_fma_f64 v[66:67], v[177:178], s[24:25], -v[98:99]
	v_fma_f64 v[104:105], v[177:178], s[28:29], -v[108:109]
	v_fma_f64 v[106:107], v[160:161], s[28:29], v[94:95]
	v_fma_f64 v[112:113], v[181:182], s[28:29], -v[96:97]
	v_add_f64 v[56:57], v[100:101], v[56:57]
	v_mul_f64 v[100:101], v[189:190], s[36:37]
	v_mul_f64 v[116:117], v[179:180], s[36:37]
	;; [unrolled: 1-line block ×4, first 2 shown]
	v_add_f64 v[191:192], v[22:23], -v[34:35]
	v_add_f64 v[201:202], v[20:21], -v[32:33]
	s_mov_b32 s34, 0xd0032e0c
	s_mov_b32 s35, 0xbfe7f3cc
	;; [unrolled: 1-line block ×6, first 2 shown]
	v_add_f64 v[52:53], v[64:65], v[52:53]
	v_add_f64 v[54:55], v[66:67], v[54:55]
	;; [unrolled: 1-line block ×5, first 2 shown]
	v_fma_f64 v[64:65], v[160:161], s[34:35], v[100:101]
	v_fma_f64 v[66:67], v[181:182], s[34:35], -v[116:117]
	v_fma_f64 v[120:121], v[160:161], s[2:3], v[118:119]
	v_fma_f64 v[122:123], v[181:182], s[2:3], -v[124:125]
	v_add_f64 v[183:184], v[20:21], v[32:33]
	v_add_f64 v[185:186], v[22:23], v[34:35]
	v_mul_f64 v[104:105], v[191:192], s[44:45]
	v_mul_f64 v[106:107], v[201:202], s[44:45]
	;; [unrolled: 1-line block ×4, first 2 shown]
	v_add_f64 v[52:53], v[64:65], v[52:53]
	v_add_f64 v[54:55], v[66:67], v[54:55]
	;; [unrolled: 1-line block ×4, first 2 shown]
	v_fma_f64 v[64:65], v[183:184], s[34:35], v[104:105]
	v_fma_f64 v[66:67], v[185:186], s[34:35], -v[106:107]
	v_fma_f64 v[120:121], v[183:184], s[18:19], v[112:113]
	v_fma_f64 v[122:123], v[185:186], s[18:19], -v[128:129]
	v_mul_f64 v[134:135], v[191:192], s[16:17]
	v_mul_f64 v[138:139], v[201:202], s[16:17]
	v_add_f64 v[199:200], v[26:27], -v[30:31]
	v_add_f64 v[203:204], v[24:25], -v[28:29]
	v_add_f64 v[48:49], v[64:65], v[48:49]
	v_add_f64 v[50:51], v[66:67], v[50:51]
	;; [unrolled: 1-line block ×4, first 2 shown]
	v_fma_f64 v[64:65], v[183:184], s[10:11], v[134:135]
	v_fma_f64 v[66:67], v[185:186], s[10:11], -v[138:139]
	v_add_f64 v[193:194], v[24:25], v[28:29]
	v_add_f64 v[197:198], v[26:27], v[30:31]
	v_mul_f64 v[120:121], v[199:200], s[26:27]
	v_mul_f64 v[122:123], v[203:204], s[26:27]
	v_mul_f64 v[126:127], v[199:200], s[38:39]
	v_mul_f64 v[140:141], v[203:204], s[38:39]
	v_mul_f64 v[142:143], v[199:200], s[44:45]
	v_mul_f64 v[146:147], v[203:204], s[44:45]
	v_add_f64 v[64:65], v[64:65], v[56:57]
	v_add_f64 v[66:67], v[66:67], v[58:59]
	v_fma_f64 v[56:57], v[193:194], s[24:25], v[120:121]
	v_fma_f64 v[58:59], v[197:198], s[24:25], -v[122:123]
	v_fma_f64 v[150:151], v[193:194], s[2:3], v[126:127]
	v_fma_f64 v[152:153], v[197:198], s[2:3], -v[140:141]
	;; [unrolled: 2-line block ×3, first 2 shown]
	s_load_dwordx2 s[6:7], s[4:5], 0x20
	s_load_dwordx2 s[8:9], s[4:5], 0x8
	s_waitcnt lgkmcnt(0)
	v_add_f64 v[56:57], v[56:57], v[48:49]
	v_add_f64 v[58:59], v[58:59], v[50:51]
	v_add_f64 v[52:53], v[150:151], v[52:53]
	v_add_f64 v[54:55], v[152:153], v[54:55]
	v_add_f64 v[48:49], v[156:157], v[64:65]
	v_add_f64 v[50:51], v[167:168], v[66:67]
	v_mul_lo_u16_e32 v64, 13, v211
	s_barrier
	buffer_store_dword v64, off, s[52:55], 0 offset:32 ; 4-byte Folded Spill
	s_and_saveexec_b64 s[4:5], s[0:1]
	s_cbranch_execz .LBB0_7
; %bb.6:
	v_mul_f64 v[64:65], v[158:159], s[24:25]
	s_mov_b32 s47, 0x3fcea1e5
	s_mov_b32 s46, s26
	v_mul_f64 v[66:67], v[175:176], s[2:3]
	v_mov_b32_e32 v248, v211
	v_mul_f64 v[210:211], v[144:145], s[26:27]
	v_mul_f64 v[216:217], v[177:178], s[34:35]
	;; [unrolled: 1-line block ×3, first 2 shown]
	v_fma_f64 v[206:207], v[132:133], s[46:47], v[64:65]
	v_mov_b32_e32 v250, v215
	v_mul_f64 v[214:215], v[181:182], s[10:11]
	v_fma_f64 v[222:223], v[148:149], s[22:23], v[66:67]
	v_mul_f64 v[236:237], v[187:188], s[44:45]
	v_fma_f64 v[228:229], v[114:115], s[24:25], v[210:211]
	v_fma_f64 v[234:235], v[165:166], s[36:37], v[216:217]
	;; [unrolled: 1-line block ×3, first 2 shown]
	v_add_f64 v[206:207], v[2:3], v[206:207]
	v_fma_f64 v[210:211], v[114:115], s[24:25], -v[210:211]
	s_mov_b32 s49, 0x3fea55e2
	s_mov_b32 s48, s16
	v_mov_b32_e32 v249, v212
	v_add_f64 v[228:229], v[0:1], v[228:229]
	v_mov_b32_e32 v164, v213
	v_mul_f64 v[212:213], v[185:186], s[28:29]
	v_add_f64 v[206:207], v[222:223], v[206:207]
	v_fma_f64 v[222:223], v[136:137], s[2:3], v[224:225]
	v_fma_f64 v[232:233], v[179:180], s[16:17], v[214:215]
	v_mul_f64 v[238:239], v[189:190], s[48:49]
	v_fma_f64 v[240:241], v[154:155], s[34:35], v[236:237]
	v_fma_f64 v[66:67], v[148:149], s[38:39], v[66:67]
	v_add_f64 v[64:65], v[2:3], v[64:65]
	v_fma_f64 v[224:225], v[136:137], s[2:3], -v[224:225]
	v_add_f64 v[206:207], v[234:235], v[206:207]
	v_add_f64 v[222:223], v[222:223], v[228:229]
	;; [unrolled: 1-line block ×3, first 2 shown]
	v_mul_f64 v[208:209], v[197:198], s[18:19]
	v_fma_f64 v[230:231], v[201:202], s[40:41], v[212:213]
	v_mul_f64 v[228:229], v[191:192], s[30:31]
	v_fma_f64 v[234:235], v[160:161], s[10:11], v[238:239]
	v_fma_f64 v[216:217], v[165:166], s[44:45], v[216:217]
	v_add_f64 v[64:65], v[66:67], v[64:65]
	v_add_f64 v[66:67], v[240:241], v[222:223]
	;; [unrolled: 1-line block ×3, first 2 shown]
	v_fma_f64 v[236:237], v[154:155], s[34:35], -v[236:237]
	v_add_f64 v[210:211], v[224:225], v[210:211]
	v_fma_f64 v[226:227], v[203:204], s[20:21], v[208:209]
	v_mul_f64 v[222:223], v[199:200], s[42:43]
	v_fma_f64 v[232:233], v[183:184], s[28:29], v[228:229]
	v_fma_f64 v[214:215], v[179:180], s[48:49], v[214:215]
	v_add_f64 v[64:65], v[216:217], v[64:65]
	v_add_f64 v[66:67], v[234:235], v[66:67]
	;; [unrolled: 1-line block ×3, first 2 shown]
	v_fma_f64 v[230:231], v[160:161], s[10:11], -v[238:239]
	v_add_f64 v[210:211], v[236:237], v[210:211]
	v_fma_f64 v[216:217], v[193:194], s[18:19], v[222:223]
	v_fma_f64 v[212:213], v[201:202], s[30:31], v[212:213]
	v_fma_f64 v[222:223], v[193:194], s[18:19], -v[222:223]
	v_add_f64 v[64:65], v[214:215], v[64:65]
	v_add_f64 v[214:215], v[232:233], v[66:67]
	;; [unrolled: 1-line block ×3, first 2 shown]
	v_mul_f64 v[226:227], v[158:159], s[34:35]
	v_fma_f64 v[206:207], v[203:204], s[42:43], v[208:209]
	v_fma_f64 v[208:209], v[183:184], s[28:29], -v[228:229]
	v_mul_f64 v[228:229], v[144:145], s[44:45]
	v_add_f64 v[210:211], v[230:231], v[210:211]
	v_add_f64 v[212:213], v[212:213], v[64:65]
	;; [unrolled: 1-line block ×3, first 2 shown]
	v_mul_f64 v[214:215], v[175:176], s[18:19]
	v_fma_f64 v[216:217], v[132:133], s[36:37], v[226:227]
	v_mul_f64 v[230:231], v[162:163], s[42:43]
	v_mul_f64 v[236:237], v[187:188], s[16:17]
	v_fma_f64 v[232:233], v[114:115], s[34:35], v[228:229]
	v_add_f64 v[210:211], v[208:209], v[210:211]
	v_add_f64 v[208:209], v[206:207], v[212:213]
	v_mul_f64 v[212:213], v[177:178], s[10:11]
	v_fma_f64 v[234:235], v[148:149], s[20:21], v[214:215]
	v_add_f64 v[216:217], v[2:3], v[216:217]
	v_fma_f64 v[238:239], v[136:137], s[18:19], v[230:231]
	v_fma_f64 v[240:241], v[154:155], s[10:11], v[236:237]
	v_add_f64 v[232:233], v[0:1], v[232:233]
	v_add_f64 v[206:207], v[222:223], v[210:211]
	v_fma_f64 v[222:223], v[132:133], s[44:45], v[226:227]
	v_mul_f64 v[210:211], v[181:182], s[24:25]
	v_fma_f64 v[226:227], v[165:166], s[48:49], v[212:213]
	v_add_f64 v[216:217], v[234:235], v[216:217]
	v_fma_f64 v[214:215], v[148:149], s[42:43], v[214:215]
	v_fma_f64 v[228:229], v[114:115], s[34:35], -v[228:229]
	v_add_f64 v[232:233], v[238:239], v[232:233]
	v_mul_f64 v[238:239], v[189:190], s[46:47]
	v_add_f64 v[222:223], v[2:3], v[222:223]
	v_mul_f64 v[234:235], v[185:186], s[2:3]
	v_fma_f64 v[242:243], v[179:180], s[26:27], v[210:211]
	v_add_f64 v[216:217], v[226:227], v[216:217]
	v_mul_f64 v[226:227], v[191:192], s[38:39]
	v_fma_f64 v[212:213], v[165:166], s[16:17], v[212:213]
	v_add_f64 v[232:233], v[240:241], v[232:233]
	v_fma_f64 v[240:241], v[160:161], s[24:25], v[238:239]
	v_add_f64 v[214:215], v[214:215], v[222:223]
	v_fma_f64 v[230:231], v[136:137], s[18:19], -v[230:231]
	v_add_f64 v[228:229], v[0:1], v[228:229]
	v_mul_f64 v[222:223], v[197:198], s[28:29]
	v_add_f64 v[216:217], v[242:243], v[216:217]
	v_fma_f64 v[242:243], v[201:202], s[22:23], v[234:235]
	v_fma_f64 v[236:237], v[154:155], s[10:11], -v[236:237]
	v_add_f64 v[232:233], v[240:241], v[232:233]
	v_fma_f64 v[240:241], v[183:184], s[2:3], v[226:227]
	v_add_f64 v[212:213], v[212:213], v[214:215]
	v_mul_f64 v[214:215], v[199:200], s[30:31]
	v_add_f64 v[228:229], v[230:231], v[228:229]
	v_mul_f64 v[156:157], v[158:159], s[2:3]
	v_mul_f64 v[218:219], v[158:159], s[10:11]
	;; [unrolled: 1-line block ×3, first 2 shown]
	v_fma_f64 v[210:211], v[179:180], s[46:47], v[210:211]
	v_add_f64 v[216:217], v[242:243], v[216:217]
	v_fma_f64 v[242:243], v[203:204], s[40:41], v[222:223]
	v_add_f64 v[232:233], v[240:241], v[232:233]
	;; [unrolled: 2-line block ×3, first 2 shown]
	v_fma_f64 v[236:237], v[160:161], s[24:25], -v[238:239]
	v_mul_f64 v[158:159], v[158:159], s[28:29]
	v_mul_f64 v[171:172], v[175:176], s[10:11]
	;; [unrolled: 1-line block ×4, first 2 shown]
	v_add_f64 v[244:245], v[210:211], v[212:213]
	v_add_f64 v[212:213], v[242:243], v[216:217]
	v_fma_f64 v[216:217], v[201:202], s[38:39], v[234:235]
	v_add_f64 v[210:211], v[240:241], v[232:233]
	v_mul_f64 v[144:145], v[144:145], s[30:31]
	v_fma_f64 v[226:227], v[183:184], s[2:3], -v[226:227]
	v_add_f64 v[228:229], v[236:237], v[228:229]
	v_mul_f64 v[175:176], v[175:176], s[34:35]
	v_fma_f64 v[232:233], v[132:133], s[40:41], v[158:159]
	v_fma_f64 v[222:223], v[203:204], s[30:31], v[222:223]
	v_add_f64 v[216:217], v[216:217], v[244:245]
	v_mul_f64 v[162:163], v[162:163], s[36:37]
	v_fma_f64 v[234:235], v[114:115], s[28:29], v[144:145]
	v_mul_f64 v[236:237], v[177:178], s[2:3]
	v_add_f64 v[226:227], v[226:227], v[228:229]
	v_fma_f64 v[228:229], v[148:149], s[44:45], v[175:176]
	v_add_f64 v[232:233], v[2:3], v[232:233]
	v_fma_f64 v[132:133], v[132:133], s[30:31], v[158:159]
	v_add_f64 v[216:217], v[222:223], v[216:217]
	v_mul_f64 v[187:188], v[187:188], s[38:39]
	v_fma_f64 v[222:223], v[136:137], s[34:35], v[162:163]
	v_add_f64 v[234:235], v[0:1], v[234:235]
	v_fma_f64 v[158:159], v[165:166], s[22:23], v[236:237]
	v_fma_f64 v[148:149], v[148:149], s[36:37], v[175:176]
	v_add_f64 v[228:229], v[228:229], v[232:233]
	v_mul_f64 v[232:233], v[181:182], s[18:19]
	v_add_f64 v[132:133], v[2:3], v[132:133]
	v_mul_f64 v[189:190], v[189:190], s[20:21]
	v_fma_f64 v[165:166], v[165:166], s[38:39], v[236:237]
	v_add_f64 v[222:223], v[222:223], v[234:235]
	v_fma_f64 v[234:235], v[154:155], s[2:3], v[187:188]
	v_mul_f64 v[150:151], v[114:115], s[2:3]
	v_add_f64 v[158:159], v[158:159], v[228:229]
	v_fma_f64 v[228:229], v[179:180], s[42:43], v[232:233]
	v_add_f64 v[132:133], v[148:149], v[132:133]
	v_mul_f64 v[152:153], v[114:115], s[10:11]
	v_mul_f64 v[167:168], v[114:115], s[18:19]
	v_fma_f64 v[148:149], v[160:161], s[18:19], v[189:190]
	v_add_f64 v[222:223], v[234:235], v[222:223]
	v_fma_f64 v[114:115], v[114:115], s[28:29], -v[144:145]
	v_fma_f64 v[179:180], v[179:180], s[20:21], v[232:233]
	v_add_f64 v[158:159], v[228:229], v[158:159]
	v_mul_f64 v[228:229], v[185:186], s[24:25]
	v_add_f64 v[132:133], v[165:166], v[132:133]
	v_mul_f64 v[169:170], v[136:137], s[10:11]
	v_mul_f64 v[173:174], v[136:137], s[28:29]
	;; [unrolled: 1-line block ×3, first 2 shown]
	v_add_f64 v[148:149], v[148:149], v[222:223]
	v_fma_f64 v[136:137], v[136:137], s[34:35], -v[162:163]
	v_add_f64 v[114:115], v[0:1], v[114:115]
	v_fma_f64 v[222:223], v[201:202], s[26:27], v[228:229]
	v_fma_f64 v[201:202], v[201:202], s[46:47], v[228:229]
	v_mul_f64 v[162:163], v[197:198], s[10:11]
	v_add_f64 v[132:133], v[179:180], v[132:133]
	v_add_f64 v[220:221], v[110:111], v[220:221]
	v_mul_f64 v[238:239], v[177:178], s[18:19]
	v_mul_f64 v[240:241], v[177:178], s[24:25]
	v_add_f64 v[114:115], v[136:137], v[114:115]
	v_mul_f64 v[177:178], v[177:178], s[28:29]
	v_add_f64 v[130:131], v[130:131], v[230:231]
	v_fma_f64 v[136:137], v[203:204], s[16:17], v[162:163]
	v_fma_f64 v[162:163], v[203:204], s[48:49], v[162:163]
	v_add_f64 v[132:133], v[201:202], v[132:133]
	v_add_f64 v[90:91], v[90:91], v[218:219]
	;; [unrolled: 1-line block ×3, first 2 shown]
	v_mul_f64 v[236:237], v[181:182], s[28:29]
	v_mul_f64 v[232:233], v[181:182], s[34:35]
	;; [unrolled: 1-line block ×3, first 2 shown]
	v_add_f64 v[6:7], v[2:3], v[6:7]
	v_add_f64 v[108:109], v[108:109], v[177:178]
	;; [unrolled: 1-line block ×4, first 2 shown]
	v_add_f64 v[78:79], v[167:168], -v[78:79]
	v_add_f64 v[86:87], v[86:87], v[195:196]
	v_add_f64 v[90:91], v[2:3], v[90:91]
	;; [unrolled: 1-line block ×3, first 2 shown]
	v_mul_f64 v[175:176], v[154:155], s[28:29]
	v_mul_f64 v[179:180], v[185:186], s[34:35]
	;; [unrolled: 1-line block ×3, first 2 shown]
	v_add_f64 v[130:131], v[130:131], v[132:133]
	v_mul_f64 v[185:186], v[185:186], s[10:11]
	v_add_f64 v[6:7], v[6:7], v[10:11]
	v_add_f64 v[8:9], v[124:125], v[181:182]
	v_add_f64 v[10:11], v[224:225], -v[92:93]
	v_add_f64 v[78:79], v[0:1], v[78:79]
	v_add_f64 v[98:99], v[98:99], v[240:241]
	;; [unrolled: 1-line block ×7, first 2 shown]
	v_add_f64 v[14:15], v[175:176], -v[102:103]
	v_add_f64 v[10:11], v[10:11], v[78:79]
	v_add_f64 v[78:79], v[116:117], v[232:233]
	;; [unrolled: 1-line block ×6, first 2 shown]
	v_fma_f64 v[214:215], v[193:194], s[28:29], -v[214:215]
	v_mul_f64 v[144:145], v[160:161], s[34:35]
	v_add_f64 v[10:11], v[14:15], v[10:11]
	v_mul_f64 v[165:166], v[160:161], s[2:3]
	v_add_f64 v[14:15], v[78:79], v[86:87]
	v_add_f64 v[8:9], v[12:13], v[8:9]
	;; [unrolled: 1-line block ×6, first 2 shown]
	v_mul_f64 v[226:227], v[154:155], s[24:25]
	v_mul_f64 v[191:192], v[191:192], s[46:47]
	;; [unrolled: 1-line block ×4, first 2 shown]
	v_add_f64 v[12:13], v[12:13], v[14:15]
	v_add_f64 v[4:5], v[4:5], v[24:25]
	v_add_f64 v[14:15], v[150:151], -v[68:69]
	v_add_f64 v[24:25], v[152:153], -v[72:73]
	v_add_f64 v[6:7], v[6:7], v[26:27]
	v_add_f64 v[26:27], v[173:174], -v[80:81]
	v_fma_f64 v[154:155], v[154:155], s[2:3], -v[187:188]
	v_mul_f64 v[187:188], v[183:184], s[18:19]
	v_mul_f64 v[201:202], v[183:184], s[10:11]
	v_add_f64 v[4:5], v[4:5], v[28:29]
	v_add_f64 v[14:15], v[0:1], v[14:15]
	;; [unrolled: 1-line block ×4, first 2 shown]
	v_add_f64 v[24:25], v[226:227], -v[88:89]
	v_fma_f64 v[160:161], v[160:161], s[18:19], -v[189:190]
	v_fma_f64 v[189:190], v[183:184], s[24:25], v[191:192]
	v_add_f64 v[18:19], v[165:166], -v[118:119]
	v_add_f64 v[4:5], v[4:5], v[32:33]
	v_mul_f64 v[228:229], v[183:184], s[34:35]
	v_add_f64 v[0:1], v[26:27], v[0:1]
	v_add_f64 v[6:7], v[6:7], v[34:35]
	v_add_f64 v[26:27], v[144:145], -v[100:101]
	v_add_f64 v[158:159], v[222:223], v[158:159]
	v_mul_f64 v[222:223], v[193:194], s[2:3]
	v_add_f64 v[148:149], v[189:190], v[148:149]
	v_add_f64 v[4:5], v[4:5], v[36:37]
	v_mul_f64 v[189:190], v[197:198], s[2:3]
	v_add_f64 v[0:1], v[24:25], v[0:1]
	v_fma_f64 v[183:184], v[183:184], s[24:25], -v[191:192]
	v_mul_f64 v[191:192], v[193:194], s[34:35]
	v_add_f64 v[22:23], v[201:202], -v[134:135]
	v_add_f64 v[10:11], v[18:19], v[10:11]
	v_add_f64 v[6:7], v[6:7], v[38:39]
	v_add_f64 v[24:25], v[187:188], -v[112:113]
	v_add_f64 v[4:5], v[4:5], v[40:41]
	v_add_f64 v[0:1], v[26:27], v[0:1]
	;; [unrolled: 1-line block ×3, first 2 shown]
	v_add_f64 v[20:21], v[191:192], -v[142:143]
	v_add_f64 v[26:27], v[222:223], -v[126:127]
	v_add_f64 v[22:23], v[22:23], v[10:11]
	v_add_f64 v[6:7], v[6:7], v[42:43]
	v_add_f64 v[70:71], v[70:71], v[156:157]
	v_add_f64 v[4:5], v[4:5], v[44:45]
	v_add_f64 v[0:1], v[24:25], v[0:1]
	v_add_f64 v[68:69], v[76:77], v[171:172]
	v_add_f64 v[28:29], v[84:85], v[238:239]
	v_add_f64 v[30:31], v[246:247], -v[82:83]
	v_add_f64 v[32:33], v[96:97], v[236:237]
	v_add_f64 v[36:37], v[6:7], v[46:47]
	;; [unrolled: 1-line block ×6, first 2 shown]
	buffer_load_dword v20, off, s[52:55], 0 offset:32 ; 4-byte Folded Reload
	v_add_f64 v[2:3], v[2:3], v[70:71]
	v_add_f64 v[70:71], v[169:170], -v[74:75]
	v_add_f64 v[114:115], v[154:155], v[114:115]
	v_mul_f64 v[154:155], v[193:194], s[24:25]
	v_mul_f64 v[242:243], v[197:198], s[24:25]
	;; [unrolled: 1-line block ×4, first 2 shown]
	v_add_f64 v[18:19], v[136:137], v[158:159]
	v_add_f64 v[2:3], v[68:69], v[2:3]
	;; [unrolled: 1-line block ×4, first 2 shown]
	v_add_f64 v[34:35], v[154:155], -v[120:121]
	v_fma_f64 v[160:161], v[193:194], s[10:11], v[199:200]
	v_add_f64 v[16:17], v[146:147], v[197:198]
	v_fma_f64 v[162:163], v[193:194], s[10:11], -v[199:200]
	v_add_f64 v[2:3], v[28:29], v[2:3]
	v_add_f64 v[28:29], v[234:235], -v[94:95]
	v_add_f64 v[14:15], v[30:31], v[14:15]
	v_add_f64 v[30:31], v[106:107], v[179:180]
	;; [unrolled: 1-line block ×4, first 2 shown]
	v_add_f64 v[32:33], v[228:229], -v[104:105]
	v_add_f64 v[14:15], v[28:29], v[14:15]
	v_add_f64 v[28:29], v[122:123], v[242:243]
	v_add_f64 v[108:109], v[162:163], v[114:115]
	v_add_f64 v[30:31], v[30:31], v[2:3]
	v_add_f64 v[2:3], v[16:17], v[8:9]
	v_add_f64 v[32:33], v[32:33], v[14:15]
	v_add_f64 v[14:15], v[36:37], v[62:63]
	v_add_f64 v[16:17], v[160:161], v[148:149]
	v_add_f64 v[10:11], v[28:29], v[30:31]
	v_add_f64 v[8:9], v[34:35], v[32:33]
	s_waitcnt vmcnt(0)
	v_add_lshl_u32 v20, v205, v20, 4
	ds_write_b128 v20, v[12:15]
	ds_write_b128 v20, v[8:11] offset:16
	ds_write_b128 v20, v[4:7] offset:32
	;; [unrolled: 1-line block ×5, first 2 shown]
	v_mov_b32_e32 v215, v250
	ds_write_b128 v20, v[206:209] offset:96
	ds_write_b128 v20, v[64:67] offset:112
	;; [unrolled: 1-line block ×3, first 2 shown]
	v_mov_b32_e32 v213, v164
	v_mov_b32_e32 v212, v249
	;; [unrolled: 1-line block ×3, first 2 shown]
	ds_write_b128 v20, v[16:19] offset:144
	ds_write_b128 v20, v[48:51] offset:160
	;; [unrolled: 1-line block ×4, first 2 shown]
.LBB0_7:
	s_or_b64 exec, exec, s[4:5]
	v_add_lshl_u32 v255, v205, v211, 4
	s_waitcnt vmcnt(0) lgkmcnt(0)
	s_barrier
	ds_read_b128 v[64:67], v255
	ds_read_b128 v[60:63], v255 offset:1040
	ds_read_b128 v[84:87], v255 offset:2288
	;; [unrolled: 1-line block ×9, first 2 shown]
	v_cmp_gt_u16_e64 s[2:3], 13, v211
                                        ; implicit-def: $vgpr100_vgpr101
                                        ; implicit-def: $vgpr104_vgpr105
	s_and_saveexec_b64 s[4:5], s[2:3]
	s_cbranch_execz .LBB0_9
; %bb.8:
	ds_read_b128 v[48:51], v255 offset:2080
	ds_read_b128 v[52:55], v255 offset:4368
	ds_read_b128 v[56:59], v255 offset:6656
	ds_read_b128 v[100:103], v255 offset:8944
	ds_read_b128 v[104:107], v255 offset:11232
.LBB0_9:
	s_or_b64 exec, exec, s[4:5]
	s_movk_i32 s4, 0x4f
	v_mul_lo_u16_sdwa v0, v211, s4 dst_sel:DWORD dst_unused:UNUSED_PAD src0_sel:BYTE_0 src1_sel:DWORD
	v_lshrrev_b16_e32 v108, 10, v0
	v_mul_lo_u16_e32 v0, 13, v108
	v_sub_u16_e32 v109, v211, v0
	v_mov_b32_e32 v0, 6
	v_lshlrev_b32_sdwa v1, v0, v109 dst_sel:DWORD dst_unused:UNUSED_PAD src0_sel:DWORD src1_sel:BYTE_0
	global_load_dwordx4 v[20:23], v1, s[8:9] offset:48
	global_load_dwordx4 v[24:27], v1, s[8:9] offset:32
	;; [unrolled: 1-line block ×3, first 2 shown]
	global_load_dwordx4 v[32:35], v1, s[8:9]
	v_add_u16_e32 v1, 0x41, v211
	v_mul_lo_u16_sdwa v2, v1, s4 dst_sel:DWORD dst_unused:UNUSED_PAD src0_sel:BYTE_0 src1_sel:DWORD
	v_lshrrev_b16_e32 v110, 10, v2
	v_mul_lo_u16_e32 v2, 13, v110
	v_sub_u16_e32 v111, v1, v2
	v_lshlrev_b32_sdwa v0, v0, v111 dst_sel:DWORD dst_unused:UNUSED_PAD src0_sel:DWORD src1_sel:BYTE_0
	global_load_dwordx4 v[16:19], v0, s[8:9] offset:48
	global_load_dwordx4 v[36:39], v0, s[8:9] offset:32
	;; [unrolled: 1-line block ×3, first 2 shown]
	global_load_dwordx4 v[44:47], v0, s[8:9]
	v_add_u16_e32 v0, 0x82, v211
	v_mul_lo_u16_sdwa v1, v0, s4 dst_sel:DWORD dst_unused:UNUSED_PAD src0_sel:BYTE_0 src1_sel:DWORD
	v_lshrrev_b16_e32 v1, 10, v1
	v_mul_lo_u16_e32 v1, 13, v1
	v_sub_u16_e32 v0, v0, v1
	buffer_store_dword v0, off, s[52:55], 0 offset:36 ; 4-byte Folded Spill
	v_lshlrev_b16_e32 v0, 2, v0
	v_and_b32_e32 v0, 0xfc, v0
	v_lshlrev_b32_e32 v0, 4, v0
	global_load_dwordx4 v[219:222], v0, s[8:9]
	global_load_dwordx4 v[1:4], v0, s[8:9] offset:16
	global_load_dwordx4 v[245:248], v0, s[8:9] offset:32
	;; [unrolled: 1-line block ×3, first 2 shown]
	s_load_dwordx4 s[4:7], s[6:7], 0x0
	s_mov_b32 s18, 0x134454ff
	s_mov_b32 s19, 0x3fee6f0e
	;; [unrolled: 1-line block ×10, first 2 shown]
	s_waitcnt vmcnt(12) lgkmcnt(0)
	v_mul_f64 v[124:125], v[98:99], v[22:23]
	s_waitcnt vmcnt(11)
	v_mul_f64 v[122:123], v[92:93], v[26:27]
	v_mul_f64 v[120:121], v[94:95], v[26:27]
	s_waitcnt vmcnt(9)
	v_mul_f64 v[112:113], v[86:87], v[34:35]
	v_mul_f64 v[116:117], v[90:91], v[30:31]
	;; [unrolled: 1-line block ×5, first 2 shown]
	s_waitcnt vmcnt(7)
	v_mul_f64 v[138:139], v[76:77], v[38:39]
	s_waitcnt vmcnt(6)
	v_mul_f64 v[134:135], v[72:73], v[42:43]
	v_mul_f64 v[132:133], v[74:75], v[42:43]
	v_fma_f64 v[94:95], v[94:95], v[24:25], v[122:123]
	s_waitcnt vmcnt(5)
	v_mul_f64 v[128:129], v[70:71], v[46:47]
	v_fma_f64 v[84:85], v[84:85], v[32:33], -v[112:113]
	v_fma_f64 v[88:89], v[88:89], v[28:29], -v[116:117]
	;; [unrolled: 1-line block ×4, first 2 shown]
	s_waitcnt vmcnt(3)
	v_mul_f64 v[146:147], v[52:53], v[221:222]
	s_waitcnt vmcnt(2)
	v_mul_f64 v[148:149], v[58:59], v[3:4]
	v_mul_f64 v[144:145], v[54:55], v[221:222]
	;; [unrolled: 1-line block ×3, first 2 shown]
	v_fma_f64 v[122:123], v[74:75], v[40:41], v[134:135]
	s_waitcnt vmcnt(0)
	v_mul_f64 v[156:157], v[106:107], v[233:234]
	v_mul_f64 v[130:131], v[68:69], v[46:47]
	;; [unrolled: 1-line block ×3, first 2 shown]
	v_fma_f64 v[74:75], v[54:55], v[219:220], v[146:147]
	v_fma_f64 v[54:55], v[56:57], v[1:2], -v[148:149]
	buffer_store_dword v1, off, s[52:55], 0 offset:40 ; 4-byte Folded Spill
	s_nop 0
	buffer_store_dword v2, off, s[52:55], 0 offset:44 ; 4-byte Folded Spill
	buffer_store_dword v3, off, s[52:55], 0 offset:48 ; 4-byte Folded Spill
	;; [unrolled: 1-line block ×3, first 2 shown]
	v_mul_f64 v[140:141], v[82:83], v[18:19]
	v_mul_f64 v[142:143], v[80:81], v[18:19]
	;; [unrolled: 1-line block ×5, first 2 shown]
	v_fma_f64 v[86:87], v[86:87], v[32:33], v[114:115]
	v_fma_f64 v[90:91], v[90:91], v[28:29], v[118:119]
	v_fma_f64 v[98:99], v[98:99], v[20:21], v[126:127]
	v_fma_f64 v[112:113], v[68:69], v[44:45], -v[128:129]
	v_fma_f64 v[126:127], v[78:79], v[36:37], v[138:139]
	v_add_f64 v[78:79], v[88:89], v[92:93]
	v_fma_f64 v[114:115], v[70:71], v[44:45], v[130:131]
	v_fma_f64 v[118:119], v[72:73], v[40:41], -v[132:133]
	v_fma_f64 v[120:121], v[76:77], v[36:37], -v[136:137]
	;; [unrolled: 1-line block ×3, first 2 shown]
	v_fma_f64 v[128:129], v[82:83], v[16:17], v[142:143]
	v_fma_f64 v[56:57], v[100:101], v[245:246], -v[152:153]
	v_fma_f64 v[70:71], v[102:103], v[245:246], v[154:155]
	v_fma_f64 v[72:73], v[106:107], v[231:232], v[158:159]
	v_add_f64 v[76:77], v[64:65], v[84:85]
	v_add_f64 v[80:81], v[86:87], -v[98:99]
	v_add_f64 v[82:83], v[90:91], -v[94:95]
	;; [unrolled: 1-line block ×6, first 2 shown]
	v_add_f64 v[130:131], v[66:67], v[86:87]
	v_add_f64 v[132:133], v[90:91], v[94:95]
	v_fma_f64 v[78:79], v[78:79], -0.5, v[64:65]
	v_add_f64 v[134:135], v[84:85], -v[96:97]
	v_add_f64 v[136:137], v[88:89], -v[92:93]
	v_add_f64 v[76:77], v[76:77], v[88:89]
	v_add_f64 v[88:89], v[100:101], v[102:103]
	;; [unrolled: 1-line block ×4, first 2 shown]
	v_add_f64 v[138:139], v[86:87], -v[90:91]
	v_fma_f64 v[106:107], v[80:81], s[18:19], v[78:79]
	v_fma_f64 v[78:79], v[80:81], s[22:23], v[78:79]
	v_add_f64 v[140:141], v[98:99], -v[94:95]
	v_fma_f64 v[52:53], v[52:53], v[219:220], -v[144:145]
	v_add_f64 v[146:147], v[70:71], -v[72:73]
	v_fma_f64 v[78:79], v[82:83], s[20:21], v[78:79]
	v_fma_f64 v[68:69], v[58:59], v[1:2], v[150:151]
	v_fma_f64 v[58:59], v[104:105], v[231:232], -v[156:157]
	v_add_f64 v[104:105], v[84:85], v[96:97]
	v_add_f64 v[84:85], v[86:87], v[98:99]
	v_add_f64 v[86:87], v[90:91], -v[86:87]
	v_add_f64 v[90:91], v[94:95], -v[98:99]
	;; [unrolled: 1-line block ×3, first 2 shown]
	v_fma_f64 v[64:65], v[104:105], -0.5, v[64:65]
	v_fma_f64 v[104:105], v[132:133], -0.5, v[66:67]
	;; [unrolled: 1-line block ×3, first 2 shown]
	v_add_f64 v[66:67], v[76:77], v[92:93]
	v_add_f64 v[76:77], v[102:103], v[94:95]
	v_fma_f64 v[92:93], v[82:83], s[10:11], v[106:107]
	v_add_f64 v[90:91], v[86:87], v[90:91]
	v_add_f64 v[132:133], v[120:121], -v[116:117]
	v_fma_f64 v[124:125], v[82:83], s[22:23], v[64:65]
	v_fma_f64 v[64:65], v[82:83], s[18:19], v[64:65]
	;; [unrolled: 1-line block ×6, first 2 shown]
	v_add_f64 v[64:65], v[66:67], v[96:97]
	v_add_f64 v[66:67], v[76:77], v[98:99]
	v_fma_f64 v[96:97], v[136:137], s[20:21], v[84:85]
	v_fma_f64 v[76:77], v[88:89], s[16:17], v[92:93]
	;; [unrolled: 1-line block ×3, first 2 shown]
	v_add_f64 v[78:79], v[60:61], v[112:113]
	v_fma_f64 v[84:85], v[100:101], s[16:17], v[82:83]
	v_add_f64 v[82:83], v[118:119], v[120:121]
	v_fma_f64 v[88:89], v[136:137], s[18:19], v[130:131]
	;; [unrolled: 2-line block ×3, first 2 shown]
	v_fma_f64 v[104:105], v[100:101], s[16:17], v[102:103]
	v_fma_f64 v[98:99], v[136:137], s[22:23], v[130:131]
	v_add_f64 v[100:101], v[78:79], v[118:119]
	v_add_f64 v[124:125], v[114:115], -v[128:129]
	v_fma_f64 v[102:103], v[82:83], -0.5, v[60:61]
	v_fma_f64 v[88:89], v[134:135], s[20:21], v[88:89]
	v_fma_f64 v[78:79], v[92:93], s[16:17], v[96:97]
	;; [unrolled: 1-line block ×3, first 2 shown]
	v_add_f64 v[94:95], v[112:113], v[116:117]
	v_fma_f64 v[92:93], v[134:135], s[10:11], v[98:99]
	v_add_f64 v[96:97], v[100:101], v[120:121]
	v_add_f64 v[100:101], v[122:123], -v[126:127]
	v_fma_f64 v[98:99], v[124:125], s[18:19], v[102:103]
	v_fma_f64 v[86:87], v[90:91], s[16:17], v[88:89]
	v_add_f64 v[88:89], v[112:113], -v[118:119]
	v_add_f64 v[130:131], v[116:117], -v[120:121]
	v_fma_f64 v[102:103], v[124:125], s[22:23], v[102:103]
	v_fma_f64 v[94:95], v[94:95], -0.5, v[60:61]
	v_fma_f64 v[106:107], v[90:91], s[16:17], v[92:93]
	v_add_f64 v[60:61], v[96:97], v[116:117]
	v_fma_f64 v[90:91], v[100:101], s[10:11], v[98:99]
	v_add_f64 v[92:93], v[62:63], v[114:115]
	v_add_f64 v[96:97], v[122:123], v[126:127]
	;; [unrolled: 1-line block ×3, first 2 shown]
	v_fma_f64 v[98:99], v[100:101], s[20:21], v[102:103]
	v_fma_f64 v[102:103], v[100:101], s[22:23], v[94:95]
	v_add_f64 v[130:131], v[118:119], -v[112:113]
	v_fma_f64 v[94:95], v[100:101], s[18:19], v[94:95]
	v_add_f64 v[100:101], v[112:113], -v[116:117]
	v_add_f64 v[92:93], v[92:93], v[122:123]
	v_fma_f64 v[96:97], v[96:97], -0.5, v[62:63]
	v_fma_f64 v[112:113], v[88:89], s[16:17], v[90:91]
	v_fma_f64 v[116:117], v[88:89], s[16:17], v[98:99]
	;; [unrolled: 1-line block ×3, first 2 shown]
	v_add_f64 v[90:91], v[130:131], v[132:133]
	v_add_f64 v[98:99], v[114:115], v[128:129]
	v_fma_f64 v[94:95], v[124:125], s[20:21], v[94:95]
	v_add_f64 v[92:93], v[92:93], v[126:127]
	v_fma_f64 v[102:103], v[100:101], s[22:23], v[96:97]
	v_add_f64 v[118:119], v[118:119], -v[120:121]
	v_add_f64 v[130:131], v[114:115], -v[122:123]
	;; [unrolled: 1-line block ×3, first 2 shown]
	v_fma_f64 v[96:97], v[100:101], s[18:19], v[96:97]
	v_fma_f64 v[98:99], v[98:99], -0.5, v[62:63]
	v_fma_f64 v[120:121], v[90:91], s[16:17], v[88:89]
	v_fma_f64 v[124:125], v[90:91], s[16:17], v[94:95]
	v_add_f64 v[90:91], v[54:55], v[56:57]
	v_add_f64 v[62:63], v[92:93], v[128:129]
	v_fma_f64 v[88:89], v[118:119], s[20:21], v[102:103]
	v_add_f64 v[92:93], v[130:131], v[132:133]
	v_fma_f64 v[94:95], v[118:119], s[10:11], v[96:97]
	v_fma_f64 v[96:97], v[118:119], s[18:19], v[98:99]
	v_add_f64 v[102:103], v[122:123], -v[114:115]
	v_add_f64 v[122:123], v[126:127], -v[128:129]
	v_fma_f64 v[98:99], v[118:119], s[22:23], v[98:99]
	v_fma_f64 v[90:91], v[90:91], -0.5, v[48:49]
	v_add_f64 v[128:129], v[74:75], -v[72:73]
	v_add_f64 v[126:127], v[52:53], v[58:59]
	v_fma_f64 v[114:115], v[92:93], s[16:17], v[88:89]
	v_fma_f64 v[118:119], v[92:93], s[16:17], v[94:95]
	;; [unrolled: 1-line block ×3, first 2 shown]
	v_add_f64 v[92:93], v[102:103], v[122:123]
	v_add_f64 v[94:95], v[68:69], -v[70:71]
	v_fma_f64 v[98:99], v[100:101], s[10:11], v[98:99]
	v_fma_f64 v[100:101], v[128:129], s[18:19], v[90:91]
	v_add_f64 v[102:103], v[52:53], -v[54:55]
	v_add_f64 v[130:131], v[58:59], -v[56:57]
	v_add_f64 v[132:133], v[68:69], v[70:71]
	v_fma_f64 v[96:97], v[126:127], -0.5, v[48:49]
	v_fma_f64 v[122:123], v[92:93], s[16:17], v[88:89]
	v_fma_f64 v[88:89], v[128:129], s[22:23], v[90:91]
	;; [unrolled: 1-line block ×4, first 2 shown]
	v_add_f64 v[92:93], v[74:75], v[72:73]
	v_add_f64 v[100:101], v[102:103], v[130:131]
	v_fma_f64 v[102:103], v[132:133], -0.5, v[50:51]
	v_add_f64 v[130:131], v[52:53], -v[58:59]
	v_fma_f64 v[90:91], v[94:95], s[22:23], v[96:97]
	v_fma_f64 v[88:89], v[94:95], s[20:21], v[88:89]
	v_add_f64 v[132:133], v[54:55], -v[56:57]
	v_add_f64 v[134:135], v[54:55], -v[52:53]
	;; [unrolled: 1-line block ×3, first 2 shown]
	v_fma_f64 v[94:95], v[94:95], s[18:19], v[96:97]
	v_add_f64 v[138:139], v[74:75], -v[68:69]
	v_fma_f64 v[96:97], v[130:131], s[22:23], v[102:103]
	v_add_f64 v[140:141], v[72:73], -v[70:71]
	v_fma_f64 v[102:103], v[130:131], s[18:19], v[102:103]
	v_fma_f64 v[92:93], v[92:93], -0.5, v[50:51]
	v_fma_f64 v[2:3], v[100:101], s[16:17], v[88:89]
	v_add_f64 v[134:135], v[134:135], v[136:137]
	v_fma_f64 v[90:91], v[128:129], s[10:11], v[90:91]
	v_fma_f64 v[94:95], v[128:129], s[20:21], v[94:95]
	v_fma_f64 v[128:129], v[132:133], s[20:21], v[96:97]
	v_add_f64 v[136:137], v[138:139], v[140:141]
	v_fma_f64 v[102:103], v[132:133], s[10:11], v[102:103]
	v_fma_f64 v[142:143], v[132:133], s[18:19], v[92:93]
	;; [unrolled: 4-line block ×3, first 2 shown]
	v_fma_f64 v[100:101], v[134:135], s[16:17], v[90:91]
	v_fma_f64 v[98:99], v[136:137], s[16:17], v[128:129]
	;; [unrolled: 1-line block ×5, first 2 shown]
	buffer_store_dword v2, off, s[52:55], 0 offset:16 ; 4-byte Folded Spill
	s_nop 0
	buffer_store_dword v3, off, s[52:55], 0 offset:20 ; 4-byte Folded Spill
	buffer_store_dword v4, off, s[52:55], 0 offset:24 ; 4-byte Folded Spill
	;; [unrolled: 1-line block ×3, first 2 shown]
	v_fma_f64 v[102:103], v[138:139], s[16:17], v[132:133]
	v_fma_f64 v[2:3], v[138:139], s[16:17], v[130:131]
	buffer_store_dword v0, off, s[52:55], 0 ; 4-byte Folded Spill
	s_nop 0
	buffer_store_dword v1, off, s[52:55], 0 offset:4 ; 4-byte Folded Spill
	buffer_store_dword v2, off, s[52:55], 0 offset:8 ; 4-byte Folded Spill
	;; [unrolled: 1-line block ×3, first 2 shown]
	v_mul_u32_u24_e32 v0, 0x41, v108
	v_add_u32_sdwa v0, v0, v109 dst_sel:DWORD dst_unused:UNUSED_PAD src0_sel:DWORD src1_sel:BYTE_0
	v_add_lshl_u32 v12, v205, v0, 4
	v_mul_u32_u24_e32 v0, 0x41, v110
	v_add_u32_sdwa v0, v0, v111 dst_sel:DWORD dst_unused:UNUSED_PAD src0_sel:DWORD src1_sel:BYTE_0
	v_add_lshl_u32 v13, v205, v0, 4
	s_waitcnt vmcnt(0)
	s_barrier
	ds_write_b128 v12, v[64:67]
	ds_write_b128 v12, v[76:79] offset:208
	ds_write_b128 v12, v[84:87] offset:416
	;; [unrolled: 1-line block ×4, first 2 shown]
	ds_write_b128 v13, v[60:63]
	ds_write_b128 v13, v[112:115] offset:208
	ds_write_b128 v13, v[120:123] offset:416
	ds_write_b128 v13, v[124:127] offset:624
	ds_write_b128 v13, v[116:119] offset:832
	s_and_saveexec_b64 s[10:11], s[2:3]
	s_cbranch_execz .LBB0_11
; %bb.10:
	buffer_load_dword v0, off, s[52:55], 0 offset:36 ; 4-byte Folded Reload
	v_add_f64 v[50:51], v[50:51], v[74:75]
	v_add_f64 v[48:49], v[48:49], v[52:53]
	;; [unrolled: 1-line block ×8, first 2 shown]
	s_waitcnt vmcnt(0)
	v_and_b32_e32 v0, 0xff, v0
	v_add_lshl_u32 v0, v205, v0, 4
	ds_write_b128 v0, v[96:99] offset:10608
	ds_write_b128 v0, v[100:103] offset:10816
	buffer_load_dword v1, off, s[52:55], 0  ; 4-byte Folded Reload
	buffer_load_dword v2, off, s[52:55], 0 offset:4 ; 4-byte Folded Reload
	buffer_load_dword v3, off, s[52:55], 0 offset:8 ; 4-byte Folded Reload
	;; [unrolled: 1-line block ×3, first 2 shown]
	s_waitcnt vmcnt(0)
	ds_write_b128 v0, v[1:4] offset:11024
	ds_write_b128 v0, v[48:51] offset:10400
	buffer_load_dword v1, off, s[52:55], 0 offset:16 ; 4-byte Folded Reload
	buffer_load_dword v2, off, s[52:55], 0 offset:20 ; 4-byte Folded Reload
	;; [unrolled: 1-line block ×4, first 2 shown]
	s_waitcnt vmcnt(0)
	ds_write_b128 v0, v[1:4] offset:11232
.LBB0_11:
	s_or_b64 exec, exec, s[10:11]
	v_mov_b32_e32 v49, s9
	s_movk_i32 s10, 0xa0
	v_mov_b32_e32 v48, s8
	v_mad_u64_u32 v[104:105], s[8:9], v211, s10, v[48:49]
	s_waitcnt lgkmcnt(0)
	s_barrier
	global_load_dwordx4 v[84:87], v[104:105], off offset:832
	global_load_dwordx4 v[76:79], v[104:105], off offset:848
	;; [unrolled: 1-line block ×10, first 2 shown]
	ds_read_b128 v[106:109], v255
	ds_read_b128 v[110:113], v255 offset:1040
	ds_read_b128 v[114:117], v255 offset:2080
	;; [unrolled: 1-line block ×10, first 2 shown]
	s_mov_b32 s28, 0xf8bb580b
	s_mov_b32 s16, 0x43842ef
	;; [unrolled: 1-line block ×26, first 2 shown]
	s_waitcnt vmcnt(9) lgkmcnt(9)
	v_mul_f64 v[104:105], v[112:113], v[86:87]
	v_mul_f64 v[150:151], v[110:111], v[86:87]
	s_waitcnt vmcnt(8) lgkmcnt(8)
	v_mul_f64 v[152:153], v[116:117], v[78:79]
	v_mul_f64 v[154:155], v[114:115], v[78:79]
	;; [unrolled: 3-line block ×9, first 2 shown]
	v_fma_f64 v[104:105], v[110:111], v[84:85], -v[104:105]
	v_fma_f64 v[110:111], v[112:113], v[84:85], v[150:151]
	v_fma_f64 v[112:113], v[114:115], v[76:77], -v[152:153]
	v_fma_f64 v[114:115], v[116:117], v[76:77], v[154:155]
	;; [unrolled: 2-line block ×9, first 2 shown]
	v_add_f64 v[148:149], v[106:107], v[104:105]
	v_add_f64 v[150:151], v[108:109], v[110:111]
	v_mul_f64 v[179:180], v[138:139], v[50:51]
	v_mul_f64 v[177:178], v[140:141], v[50:51]
	v_add_f64 v[152:153], v[104:105], v[136:137]
	v_add_f64 v[154:155], v[110:111], v[146:147]
	;; [unrolled: 1-line block ×4, first 2 shown]
	v_add_f64 v[160:161], v[112:113], -v[142:143]
	v_add_f64 v[162:163], v[114:115], -v[144:145]
	v_add_f64 v[112:113], v[148:149], v[112:113]
	v_add_f64 v[114:115], v[150:151], v[114:115]
	v_add_f64 v[110:111], v[110:111], -v[146:147]
	v_add_f64 v[104:105], v[104:105], -v[136:137]
	v_fma_f64 v[140:141], v[140:141], v[48:49], v[179:180]
	v_fma_f64 v[138:139], v[138:139], v[48:49], -v[177:178]
	v_mul_f64 v[179:180], v[160:161], s[18:19]
	v_mul_f64 v[177:178], v[162:163], s[18:19]
	v_add_f64 v[112:113], v[112:113], v[116:117]
	v_add_f64 v[114:115], v[114:115], v[118:119]
	v_mul_f64 v[148:149], v[110:111], s[28:29]
	v_mul_f64 v[150:151], v[104:105], s[28:29]
	;; [unrolled: 1-line block ×6, first 2 shown]
	v_add_f64 v[112:113], v[112:113], v[120:121]
	v_add_f64 v[114:115], v[114:115], v[122:123]
	v_mul_f64 v[173:174], v[110:111], s[24:25]
	v_mul_f64 v[175:176], v[104:105], s[24:25]
	;; [unrolled: 1-line block ×4, first 2 shown]
	v_fma_f64 v[185:186], v[152:153], s[20:21], -v[148:149]
	v_fma_f64 v[148:149], v[152:153], s[20:21], v[148:149]
	v_add_f64 v[112:113], v[112:113], v[124:125]
	v_add_f64 v[114:115], v[114:115], v[126:127]
	v_fma_f64 v[189:190], v[152:153], s[8:9], -v[165:166]
	v_fma_f64 v[165:166], v[152:153], s[8:9], v[165:166]
	v_fma_f64 v[193:194], v[152:153], s[10:11], -v[169:170]
	v_fma_f64 v[169:170], v[152:153], s[10:11], v[169:170]
	;; [unrolled: 2-line block ×4, first 2 shown]
	v_fma_f64 v[110:111], v[152:153], s[26:27], v[110:111]
	v_fma_f64 v[152:153], v[154:155], s[26:27], -v[104:105]
	v_add_f64 v[104:105], v[112:113], v[128:129]
	v_add_f64 v[112:113], v[114:115], v[130:131]
	v_fma_f64 v[187:188], v[154:155], s[20:21], v[150:151]
	v_mul_f64 v[181:182], v[162:163], s[24:25]
	v_fma_f64 v[150:151], v[154:155], s[20:21], -v[150:151]
	v_fma_f64 v[191:192], v[154:155], s[8:9], v[167:168]
	v_fma_f64 v[167:168], v[154:155], s[8:9], -v[167:168]
	v_fma_f64 v[195:196], v[154:155], s[10:11], v[171:172]
	v_add_f64 v[104:105], v[104:105], v[132:133]
	v_add_f64 v[112:113], v[112:113], v[134:135]
	v_fma_f64 v[171:172], v[154:155], s[10:11], -v[171:172]
	v_fma_f64 v[199:200], v[154:155], s[22:23], v[175:176]
	v_fma_f64 v[175:176], v[154:155], s[22:23], -v[175:176]
	v_fma_f64 v[114:115], v[156:157], s[8:9], -v[177:178]
	v_fma_f64 v[154:155], v[158:159], s[8:9], v[179:180]
	v_add_f64 v[185:186], v[106:107], v[185:186]
	v_add_f64 v[187:188], v[108:109], v[187:188]
	;; [unrolled: 1-line block ×4, first 2 shown]
	v_fma_f64 v[177:178], v[156:157], s[8:9], v[177:178]
	v_fma_f64 v[207:208], v[156:157], s[22:23], -v[181:182]
	v_add_f64 v[148:149], v[106:107], v[148:149]
	v_add_f64 v[189:190], v[106:107], v[189:190]
	;; [unrolled: 1-line block ×15, first 2 shown]
	v_mul_f64 v[154:155], v[160:161], s[38:39]
	v_mul_f64 v[183:184], v[160:161], s[24:25]
	v_fma_f64 v[179:180], v[158:159], s[8:9], -v[179:180]
	v_add_f64 v[150:151], v[108:109], v[150:151]
	v_add_f64 v[191:192], v[108:109], v[191:192]
	;; [unrolled: 1-line block ×11, first 2 shown]
	v_mul_f64 v[152:153], v[162:163], s[38:39]
	v_mul_f64 v[177:178], v[162:163], s[36:37]
	v_fma_f64 v[185:186], v[158:159], s[26:27], v[154:155]
	v_fma_f64 v[154:155], v[158:159], s[26:27], -v[154:155]
	v_mul_f64 v[189:190], v[160:161], s[36:37]
	v_add_f64 v[146:147], v[179:180], v[150:151]
	v_fma_f64 v[150:151], v[158:159], s[22:23], v[183:184]
	v_fma_f64 v[179:180], v[156:157], s[22:23], v[181:182]
	v_fma_f64 v[181:182], v[158:159], s[22:23], -v[183:184]
	v_fma_f64 v[183:184], v[156:157], s[26:27], -v[152:153]
	;; [unrolled: 1-line block ×3, first 2 shown]
	v_add_f64 v[154:155], v[154:155], v[171:172]
	v_fma_f64 v[171:172], v[158:159], s[10:11], v[189:190]
	v_fma_f64 v[177:178], v[156:157], s[10:11], v[177:178]
	v_mul_f64 v[162:163], v[162:163], s[34:35]
	v_fma_f64 v[152:153], v[156:157], s[26:27], v[152:153]
	v_add_f64 v[165:166], v[179:180], v[165:166]
	v_add_f64 v[179:180], v[183:184], v[193:194]
	v_add_f64 v[183:184], v[118:119], -v[140:141]
	v_mul_f64 v[160:161], v[160:161], s[34:35]
	v_add_f64 v[142:143], v[171:172], v[142:143]
	v_add_f64 v[171:172], v[116:117], -v[138:139]
	v_add_f64 v[144:145], v[177:178], v[144:145]
	v_fma_f64 v[177:178], v[156:157], s[20:21], -v[162:163]
	v_add_f64 v[167:168], v[181:182], v[167:168]
	v_add_f64 v[181:182], v[185:186], v[195:196]
	;; [unrolled: 1-line block ×4, first 2 shown]
	v_fma_f64 v[185:186], v[158:159], s[10:11], -v[189:190]
	v_add_f64 v[116:117], v[116:117], v[138:139]
	v_mul_f64 v[138:139], v[183:184], s[16:17]
	v_fma_f64 v[187:188], v[158:159], s[20:21], v[160:161]
	v_add_f64 v[118:119], v[118:119], v[140:141]
	v_mul_f64 v[140:141], v[171:172], s[16:17]
	v_fma_f64 v[156:157], v[156:157], s[20:21], v[162:163]
	v_add_f64 v[162:163], v[177:178], v[175:176]
	v_mul_f64 v[177:178], v[183:184], s[38:39]
	v_add_f64 v[173:174], v[185:186], v[173:174]
	v_fma_f64 v[158:159], v[158:159], s[20:21], -v[160:161]
	v_fma_f64 v[160:161], v[116:117], s[10:11], -v[138:139]
	v_add_f64 v[175:176], v[187:188], v[199:200]
	v_mul_f64 v[185:186], v[171:172], s[38:39]
	v_fma_f64 v[187:188], v[118:119], s[10:11], v[140:141]
	v_add_f64 v[110:111], v[156:157], v[110:111]
	v_fma_f64 v[138:139], v[116:117], s[10:11], v[138:139]
	v_fma_f64 v[140:141], v[118:119], s[10:11], -v[140:141]
	v_fma_f64 v[156:157], v[116:117], s[26:27], -v[177:178]
	v_add_f64 v[150:151], v[150:151], v[191:192]
	v_add_f64 v[108:109], v[158:159], v[108:109]
	v_fma_f64 v[158:159], v[118:119], s[26:27], v[185:186]
	s_mov_b32 s19, 0x3fed1bb4
	v_add_f64 v[112:113], v[160:161], v[112:113]
	v_add_f64 v[136:137], v[138:139], v[136:137]
	;; [unrolled: 1-line block ×4, first 2 shown]
	v_fma_f64 v[148:149], v[116:117], s[26:27], v[177:178]
	v_mul_f64 v[177:178], v[183:184], s[28:29]
	v_mul_f64 v[160:161], v[183:184], s[18:19]
	v_add_f64 v[146:147], v[158:159], v[150:151]
	v_fma_f64 v[150:151], v[118:119], s[26:27], -v[185:186]
	v_mul_f64 v[185:186], v[171:172], s[28:29]
	v_add_f64 v[114:115], v[187:188], v[114:115]
	v_mul_f64 v[187:188], v[171:172], s[18:19]
	v_add_f64 v[148:149], v[148:149], v[165:166]
	v_fma_f64 v[165:166], v[116:117], s[20:21], -v[177:178]
	v_fma_f64 v[156:157], v[116:117], s[8:9], -v[160:161]
	v_fma_f64 v[160:161], v[116:117], s[8:9], v[160:161]
	v_add_f64 v[150:151], v[150:151], v[167:168]
	v_fma_f64 v[167:168], v[118:119], s[20:21], v[185:186]
	v_mul_f64 v[171:172], v[171:172], s[24:25]
	v_fma_f64 v[158:159], v[118:119], s[8:9], v[187:188]
	v_fma_f64 v[177:178], v[116:117], s[20:21], v[177:178]
	v_add_f64 v[165:166], v[165:166], v[169:170]
	v_add_f64 v[169:170], v[120:121], -v[132:133]
	v_add_f64 v[156:157], v[156:157], v[179:180]
	v_add_f64 v[152:153], v[160:161], v[152:153]
	v_mul_f64 v[160:161], v[183:184], s[24:25]
	v_fma_f64 v[179:180], v[118:119], s[20:21], -v[185:186]
	v_add_f64 v[142:143], v[167:168], v[142:143]
	v_add_f64 v[167:168], v[122:123], -v[134:135]
	v_add_f64 v[122:123], v[122:123], v[134:135]
	v_mul_f64 v[134:135], v[169:170], s[24:25]
	v_add_f64 v[158:159], v[158:159], v[181:182]
	v_add_f64 v[120:121], v[120:121], v[132:133]
	v_fma_f64 v[181:182], v[116:117], s[22:23], -v[160:161]
	v_add_f64 v[173:174], v[179:180], v[173:174]
	v_fma_f64 v[116:117], v[116:117], s[22:23], v[160:161]
	v_mul_f64 v[132:133], v[167:168], s[24:25]
	v_mul_f64 v[160:161], v[167:168], s[36:37]
	v_fma_f64 v[179:180], v[122:123], s[22:23], v[134:135]
	v_fma_f64 v[134:135], v[122:123], s[22:23], -v[134:135]
	v_fma_f64 v[187:188], v[118:119], s[8:9], -v[187:188]
	v_fma_f64 v[183:184], v[118:119], s[22:23], v[171:172]
	v_add_f64 v[144:145], v[177:178], v[144:145]
	v_fma_f64 v[118:119], v[118:119], s[22:23], -v[171:172]
	v_mul_f64 v[171:172], v[169:170], s[36:37]
	v_fma_f64 v[177:178], v[120:121], s[22:23], -v[132:133]
	v_fma_f64 v[132:133], v[120:121], s[22:23], v[132:133]
	v_add_f64 v[110:111], v[116:117], v[110:111]
	v_fma_f64 v[116:117], v[120:121], s[10:11], -v[160:161]
	v_add_f64 v[134:135], v[134:135], v[138:139]
	v_mul_f64 v[138:139], v[169:170], s[28:29]
	v_add_f64 v[154:155], v[187:188], v[154:155]
	v_add_f64 v[108:109], v[118:119], v[108:109]
	v_fma_f64 v[118:119], v[122:123], s[10:11], v[171:172]
	v_add_f64 v[114:115], v[179:180], v[114:115]
	v_add_f64 v[132:133], v[132:133], v[136:137]
	v_mul_f64 v[136:137], v[167:168], s[28:29]
	v_add_f64 v[140:141], v[116:117], v[140:141]
	v_mul_f64 v[116:117], v[167:168], s[30:31]
	v_fma_f64 v[160:161], v[120:121], s[10:11], v[160:161]
	v_fma_f64 v[179:180], v[122:123], s[20:21], v[138:139]
	v_fma_f64 v[138:139], v[122:123], s[20:21], -v[138:139]
	v_add_f64 v[162:163], v[181:182], v[162:163]
	v_add_f64 v[112:113], v[177:178], v[112:113]
	;; [unrolled: 1-line block ×3, first 2 shown]
	v_mul_f64 v[118:119], v[169:170], s[30:31]
	v_fma_f64 v[171:172], v[122:123], s[10:11], -v[171:172]
	v_fma_f64 v[177:178], v[120:121], s[20:21], -v[136:137]
	v_fma_f64 v[136:137], v[120:121], s[20:21], v[136:137]
	v_fma_f64 v[181:182], v[120:121], s[26:27], -v[116:117]
	v_add_f64 v[148:149], v[160:161], v[148:149]
	v_add_f64 v[138:139], v[138:139], v[154:155]
	v_add_f64 v[154:155], v[126:127], -v[130:131]
	v_add_f64 v[160:161], v[124:125], -v[128:129]
	v_add_f64 v[175:176], v[183:184], v[175:176]
	v_fma_f64 v[183:184], v[122:123], s[26:27], v[118:119]
	v_add_f64 v[150:151], v[171:172], v[150:151]
	v_add_f64 v[136:137], v[136:137], v[152:153]
	;; [unrolled: 1-line block ×3, first 2 shown]
	v_mul_f64 v[165:166], v[167:168], s[18:19]
	v_mul_f64 v[167:168], v[169:170], s[18:19]
	v_fma_f64 v[116:117], v[120:121], s[26:27], v[116:117]
	v_fma_f64 v[118:119], v[122:123], s[26:27], -v[118:119]
	v_add_f64 v[169:170], v[124:125], v[128:129]
	v_add_f64 v[171:172], v[126:127], v[130:131]
	v_mul_f64 v[124:125], v[154:155], s[30:31]
	v_mul_f64 v[126:127], v[160:161], s[30:31]
	v_fma_f64 v[128:129], v[120:121], s[8:9], -v[165:166]
	v_fma_f64 v[130:131], v[122:123], s[8:9], v[167:168]
	v_add_f64 v[144:145], v[116:117], v[144:145]
	v_add_f64 v[173:174], v[118:119], v[173:174]
	v_fma_f64 v[116:117], v[120:121], s[8:9], v[165:166]
	v_fma_f64 v[118:119], v[122:123], s[8:9], -v[167:168]
	v_fma_f64 v[120:121], v[169:170], s[26:27], -v[124:125]
	v_fma_f64 v[122:123], v[171:172], s[26:27], v[126:127]
	v_add_f64 v[162:163], v[128:129], v[162:163]
	v_add_f64 v[165:166], v[130:131], v[175:176]
	v_mul_f64 v[128:129], v[154:155], s[34:35]
	v_mul_f64 v[130:131], v[160:161], s[34:35]
	v_add_f64 v[167:168], v[116:117], v[110:111]
	v_add_f64 v[175:176], v[118:119], v[108:109]
	;; [unrolled: 1-line block ×4, first 2 shown]
	v_fma_f64 v[112:113], v[169:170], s[26:27], v[124:125]
	v_fma_f64 v[114:115], v[171:172], s[26:27], -v[126:127]
	v_mul_f64 v[124:125], v[154:155], s[24:25]
	v_mul_f64 v[126:127], v[160:161], s[24:25]
	v_add_f64 v[156:157], v[177:178], v[156:157]
	v_add_f64 v[158:159], v[179:180], v[158:159]
	v_fma_f64 v[120:121], v[169:170], s[20:21], -v[128:129]
	v_fma_f64 v[122:123], v[171:172], s[20:21], v[130:131]
	v_fma_f64 v[128:129], v[169:170], s[20:21], v[128:129]
	v_fma_f64 v[130:131], v[171:172], s[20:21], -v[130:131]
	v_add_f64 v[116:117], v[112:113], v[132:133]
	v_add_f64 v[118:119], v[114:115], v[134:135]
	v_fma_f64 v[132:133], v[169:170], s[22:23], -v[124:125]
	v_fma_f64 v[134:135], v[171:172], s[22:23], v[126:127]
	v_add_f64 v[112:113], v[120:121], v[140:141]
	v_add_f64 v[114:115], v[122:123], v[146:147]
	;; [unrolled: 1-line block ×4, first 2 shown]
	v_fma_f64 v[128:129], v[169:170], s[22:23], v[124:125]
	v_fma_f64 v[130:131], v[171:172], s[22:23], -v[126:127]
	v_mul_f64 v[140:141], v[154:155], s[18:19]
	v_mul_f64 v[146:147], v[160:161], s[18:19]
	v_add_f64 v[124:125], v[132:133], v[156:157]
	v_add_f64 v[126:127], v[134:135], v[158:159]
	v_mul_f64 v[132:133], v[154:155], s[16:17]
	v_mul_f64 v[134:135], v[160:161], s[16:17]
	v_add_f64 v[142:143], v[183:184], v[142:143]
	v_add_f64 v[128:129], v[128:129], v[136:137]
	;; [unrolled: 1-line block ×3, first 2 shown]
	v_fma_f64 v[136:137], v[169:170], s[8:9], -v[140:141]
	v_fma_f64 v[138:139], v[171:172], s[8:9], v[146:147]
	v_fma_f64 v[140:141], v[169:170], s[8:9], v[140:141]
	v_fma_f64 v[146:147], v[171:172], s[8:9], -v[146:147]
	v_fma_f64 v[148:149], v[169:170], s[10:11], -v[132:133]
	v_fma_f64 v[150:151], v[171:172], s[10:11], v[134:135]
	v_fma_f64 v[154:155], v[169:170], s[10:11], v[132:133]
	v_fma_f64 v[156:157], v[171:172], s[10:11], -v[134:135]
	v_add_f64 v[132:133], v[136:137], v[152:153]
	v_add_f64 v[134:135], v[138:139], v[142:143]
	;; [unrolled: 1-line block ×8, first 2 shown]
	v_lshl_add_u32 v199, v211, 4, v215
	ds_write_b128 v199, v[104:107]
	ds_write_b128 v199, v[108:111] offset:1040
	ds_write_b128 v199, v[112:115] offset:2080
	;; [unrolled: 1-line block ×10, first 2 shown]
	s_waitcnt lgkmcnt(0)
	s_barrier
	s_and_saveexec_b64 s[8:9], s[0:1]
	s_cbranch_execz .LBB0_13
; %bb.12:
	v_add_co_u32_e32 v148, vcc, s14, v212
	v_mov_b32_e32 v0, s15
	v_addc_co_u32_e32 v149, vcc, 0, v0, vcc
	v_add_co_u32_e32 v162, vcc, 0x2cb0, v148
	v_addc_co_u32_e32 v163, vcc, 0, v149, vcc
	v_add_co_u32_e32 v154, vcc, 0x2000, v148
	v_addc_co_u32_e32 v155, vcc, 0, v149, vcc
	global_load_dwordx4 v[154:157], v[154:155], off offset:3248
	ds_read_b128 v[150:153], v199
	s_movk_i32 s10, 0x3000
	s_waitcnt vmcnt(0) lgkmcnt(0)
	v_mul_f64 v[158:159], v[152:153], v[156:157]
	v_fma_f64 v[158:159], v[150:151], v[154:155], -v[158:159]
	v_mul_f64 v[150:151], v[150:151], v[156:157]
	v_fma_f64 v[160:161], v[152:153], v[154:155], v[150:151]
	global_load_dwordx4 v[154:157], v[162:163], off offset:880
	ds_read_b128 v[150:153], v199 offset:880
	ds_write_b128 v199, v[158:161]
	s_waitcnt vmcnt(0) lgkmcnt(1)
	v_mul_f64 v[158:159], v[152:153], v[156:157]
	v_fma_f64 v[158:159], v[150:151], v[154:155], -v[158:159]
	v_mul_f64 v[150:151], v[150:151], v[156:157]
	v_fma_f64 v[160:161], v[152:153], v[154:155], v[150:151]
	global_load_dwordx4 v[154:157], v[162:163], off offset:1760
	ds_read_b128 v[150:153], v199 offset:1760
	ds_write_b128 v199, v[158:161] offset:880
	s_waitcnt vmcnt(0) lgkmcnt(1)
	v_mul_f64 v[158:159], v[152:153], v[156:157]
	v_fma_f64 v[158:159], v[150:151], v[154:155], -v[158:159]
	v_mul_f64 v[150:151], v[150:151], v[156:157]
	v_fma_f64 v[160:161], v[152:153], v[154:155], v[150:151]
	global_load_dwordx4 v[154:157], v[162:163], off offset:2640
	ds_read_b128 v[150:153], v199 offset:2640
	ds_write_b128 v199, v[158:161] offset:1760
	;; [unrolled: 8-line block ×3, first 2 shown]
	s_waitcnt vmcnt(0) lgkmcnt(1)
	v_mul_f64 v[158:159], v[152:153], v[156:157]
	v_fma_f64 v[158:159], v[150:151], v[154:155], -v[158:159]
	v_mul_f64 v[150:151], v[150:151], v[156:157]
	v_fma_f64 v[160:161], v[152:153], v[154:155], v[150:151]
	v_add_co_u32_e32 v154, vcc, s10, v148
	v_addc_co_u32_e32 v155, vcc, 0, v149, vcc
	global_load_dwordx4 v[154:157], v[154:155], off offset:3552
	ds_read_b128 v[150:153], v199 offset:4400
	s_movk_i32 s10, 0x4000
	ds_write_b128 v199, v[158:161] offset:3520
	v_add_co_u32_e32 v162, vcc, s10, v148
	v_addc_co_u32_e32 v163, vcc, 0, v149, vcc
	s_movk_i32 s10, 0x5000
	s_waitcnt vmcnt(0) lgkmcnt(1)
	v_mul_f64 v[158:159], v[152:153], v[156:157]
	v_fma_f64 v[158:159], v[150:151], v[154:155], -v[158:159]
	v_mul_f64 v[150:151], v[150:151], v[156:157]
	v_fma_f64 v[160:161], v[152:153], v[154:155], v[150:151]
	global_load_dwordx4 v[154:157], v[162:163], off offset:336
	ds_read_b128 v[150:153], v199 offset:5280
	ds_write_b128 v199, v[158:161] offset:4400
	s_waitcnt vmcnt(0) lgkmcnt(1)
	v_mul_f64 v[158:159], v[152:153], v[156:157]
	v_fma_f64 v[158:159], v[150:151], v[154:155], -v[158:159]
	v_mul_f64 v[150:151], v[150:151], v[156:157]
	v_fma_f64 v[160:161], v[152:153], v[154:155], v[150:151]
	global_load_dwordx4 v[154:157], v[162:163], off offset:1216
	ds_read_b128 v[150:153], v199 offset:6160
	ds_write_b128 v199, v[158:161] offset:5280
	;; [unrolled: 8-line block ×5, first 2 shown]
	s_waitcnt vmcnt(0) lgkmcnt(1)
	v_mul_f64 v[158:159], v[152:153], v[156:157]
	v_fma_f64 v[158:159], v[150:151], v[154:155], -v[158:159]
	v_mul_f64 v[150:151], v[150:151], v[156:157]
	v_fma_f64 v[160:161], v[152:153], v[154:155], v[150:151]
	ds_read_b128 v[150:153], v199 offset:9680
	ds_write_b128 v199, v[158:161] offset:8800
	v_add_co_u32_e32 v158, vcc, s10, v148
	v_addc_co_u32_e32 v159, vcc, 0, v149, vcc
	global_load_dwordx4 v[154:157], v[158:159], off offset:640
	s_waitcnt vmcnt(0) lgkmcnt(1)
	v_mul_f64 v[148:149], v[152:153], v[156:157]
	v_fma_f64 v[148:149], v[150:151], v[154:155], -v[148:149]
	v_mul_f64 v[150:151], v[150:151], v[156:157]
	v_fma_f64 v[150:151], v[152:153], v[154:155], v[150:151]
	global_load_dwordx4 v[152:155], v[158:159], off offset:1520
	ds_write_b128 v199, v[148:151] offset:9680
	ds_read_b128 v[148:151], v199 offset:10560
	s_waitcnt vmcnt(0) lgkmcnt(0)
	v_mul_f64 v[156:157], v[150:151], v[154:155]
	v_fma_f64 v[156:157], v[148:149], v[152:153], -v[156:157]
	v_mul_f64 v[148:149], v[148:149], v[154:155]
	v_fma_f64 v[158:159], v[150:151], v[152:153], v[148:149]
	ds_write_b128 v199, v[156:159] offset:10560
.LBB0_13:
	s_or_b64 exec, exec, s[8:9]
	s_waitcnt lgkmcnt(0)
	s_barrier
	s_and_saveexec_b64 s[8:9], s[0:1]
	s_cbranch_execz .LBB0_15
; %bb.14:
	ds_read_b128 v[104:107], v199
	ds_read_b128 v[108:111], v199 offset:880
	ds_read_b128 v[112:115], v199 offset:1760
	;; [unrolled: 1-line block ×12, first 2 shown]
.LBB0_15:
	s_or_b64 exec, exec, s[8:9]
	s_waitcnt lgkmcnt(0)
	v_add_f64 v[191:192], v[110:111], v[102:103]
	s_mov_b32 s18, 0xebaa3ed8
	s_mov_b32 s19, 0x3fbedb7d
	v_add_f64 v[217:218], v[114:115], v[98:99]
	s_mov_b32 s22, 0x93053d00
	s_mov_b32 s23, 0xbfef11f4
	v_add_f64 v[207:208], v[110:111], -v[102:103]
	s_mov_b32 s46, 0x4267c47c
	v_mul_f64 v[6:7], v[191:192], s[18:19]
	s_mov_b32 s47, 0xbfddbe06
	v_add_f64 v[181:182], v[108:109], v[100:101]
	v_mul_f64 v[14:15], v[217:218], s[22:23]
	v_add_f64 v[209:210], v[108:109], -v[100:101]
	v_add_f64 v[227:228], v[114:115], -v[98:99]
	v_mul_f64 v[0:1], v[207:208], s[46:47]
	s_mov_b32 s8, 0xe00740e9
	buffer_store_dword v6, off, s[52:55], 0 offset:56 ; 4-byte Folded Spill
	s_nop 0
	buffer_store_dword v7, off, s[52:55], 0 offset:60 ; 4-byte Folded Spill
	buffer_store_dword v14, off, s[52:55], 0 offset:104 ; 4-byte Folded Spill
	s_nop 0
	buffer_store_dword v15, off, s[52:55], 0 offset:108 ; 4-byte Folded Spill
	s_mov_b32 s16, 0x42a4c3d2
	s_mov_b32 s20, 0x66966769
	;; [unrolled: 1-line block ×5, first 2 shown]
	v_mul_f64 v[2:3], v[191:192], s[8:9]
	v_fma_f64 v[148:149], v[181:182], s[8:9], -v[0:1]
	v_add_f64 v[205:206], v[112:113], v[96:97]
	s_mov_b32 s10, 0x1ea71119
	s_mov_b32 s11, 0x3fe22d96
	v_mul_f64 v[4:5], v[207:208], s[16:17]
	v_add_f64 v[235:236], v[112:113], -v[96:97]
	v_mul_f64 v[10:11], v[217:218], s[10:11]
	v_fma_f64 v[150:151], v[209:210], s[46:47], v[2:3]
	v_add_f64 v[148:149], v[104:105], v[148:149]
	s_mov_b32 s28, 0x2ef20147
	s_mov_b32 s29, 0xbfedeba7
	v_mul_f64 v[90:91], v[191:192], s[10:11]
	v_fma_f64 v[152:153], v[181:182], s[10:11], -v[4:5]
	v_mul_f64 v[88:89], v[227:228], s[28:29]
	s_mov_b32 s24, 0xb2365da1
	v_add_f64 v[150:151], v[106:107], v[150:151]
	s_mov_b32 s25, 0xbfd6b1d8
	v_mul_f64 v[8:9], v[207:208], s[20:21]
	v_mul_f64 v[92:93], v[217:218], s[24:25]
	v_fma_f64 v[154:155], v[209:210], s[16:17], v[90:91]
	v_add_f64 v[152:153], v[104:105], v[152:153]
	s_mov_b32 s27, 0xbfcea1e5
	s_mov_b32 s26, 0x4bc48dbf
	v_mul_f64 v[94:95], v[227:228], s[26:27]
	v_add_f64 v[237:238], v[126:127], v[118:119]
	v_fma_f64 v[156:157], v[181:182], s[18:19], -v[8:9]
	v_add_f64 v[251:252], v[126:127], -v[118:119]
	v_add_f64 v[154:155], v[106:107], v[154:155]
	v_add_f64 v[229:230], v[124:125], v[116:117]
	v_add_f64 v[239:240], v[124:125], -v[116:117]
	s_mov_b32 s37, 0x3fedeba7
	s_mov_b32 s36, s28
	v_mul_f64 v[166:167], v[237:238], s[18:19]
	v_add_f64 v[156:157], v[104:105], v[156:157]
	v_mul_f64 v[164:165], v[251:252], s[20:21]
	v_mul_f64 v[223:224], v[251:252], s[26:27]
	;; [unrolled: 1-line block ×3, first 2 shown]
	v_add_f64 v[177:178], v[134:135], -v[122:123]
	v_add_f64 v[169:170], v[134:135], v[122:123]
	v_add_f64 v[243:244], v[132:133], v[120:121]
	s_mov_b32 s40, 0x24c2f84
	s_mov_b32 s41, 0x3fe5384d
	v_add_f64 v[253:254], v[132:133], -v[120:121]
	s_mov_b32 s34, 0xd0032e0c
	s_mov_b32 s35, 0xbfe7f3cc
	;; [unrolled: 1-line block ×4, first 2 shown]
	v_add_f64 v[187:188], v[138:139], -v[130:131]
	s_mov_b32 s43, 0xbfe5384d
	s_mov_b32 s42, s40
	v_add_f64 v[185:186], v[138:139], v[130:131]
	v_add_f64 v[173:174], v[136:137], v[128:129]
	s_mov_b32 s45, 0x3fefc445
	s_mov_b32 s44, s20
	v_add_f64 v[179:180], v[136:137], -v[128:129]
	v_mul_f64 v[225:226], v[187:188], s[16:17]
	v_add_f64 v[195:196], v[146:147], -v[142:143]
	v_add_f64 v[189:190], v[144:145], v[140:141]
	v_add_f64 v[197:198], v[146:147], v[142:143]
	v_add_f64 v[193:194], v[144:145], -v[140:141]
	v_mul_f64 v[241:242], v[195:196], s[38:39]
	v_mul_f64 v[175:176], v[195:196], s[42:43]
	;; [unrolled: 1-line block ×5, first 2 shown]
	v_fma_f64 v[158:159], v[209:210], s[20:21], v[6:7]
	v_mul_f64 v[6:7], v[227:228], s[16:17]
	v_add_f64 v[158:159], v[106:107], v[158:159]
	v_fma_f64 v[160:161], v[205:206], s[10:11], -v[6:7]
	v_add_f64 v[148:149], v[160:161], v[148:149]
	v_fma_f64 v[160:161], v[235:236], s[16:17], v[10:11]
	v_add_f64 v[150:151], v[160:161], v[150:151]
	v_fma_f64 v[160:161], v[205:206], s[24:25], -v[88:89]
	v_add_f64 v[152:153], v[160:161], v[152:153]
	v_fma_f64 v[160:161], v[235:236], s[28:29], v[92:93]
	;; [unrolled: 4-line block ×3, first 2 shown]
	v_mul_f64 v[14:15], v[237:238], s[22:23]
	buffer_store_dword v14, off, s[52:55], 0 offset:64 ; 4-byte Folded Spill
	s_nop 0
	buffer_store_dword v15, off, s[52:55], 0 offset:68 ; 4-byte Folded Spill
	v_add_f64 v[158:159], v[160:161], v[158:159]
	v_fma_f64 v[160:161], v[229:230], s[18:19], -v[164:165]
	v_add_f64 v[148:149], v[160:161], v[148:149]
	v_fma_f64 v[160:161], v[239:240], s[20:21], v[166:167]
	v_add_f64 v[150:151], v[160:161], v[150:151]
	v_fma_f64 v[160:161], v[229:230], s[22:23], -v[223:224]
	v_add_f64 v[152:153], v[160:161], v[152:153]
	v_fma_f64 v[160:161], v[239:240], s[26:27], v[14:15]
	v_mul_f64 v[14:15], v[251:252], s[36:37]
	buffer_store_dword v14, off, s[52:55], 0 offset:80 ; 4-byte Folded Spill
	s_nop 0
	buffer_store_dword v15, off, s[52:55], 0 offset:84 ; 4-byte Folded Spill
	buffer_store_dword v162, off, s[52:55], 0 offset:96 ; 4-byte Folded Spill
	s_nop 0
	buffer_store_dword v163, off, s[52:55], 0 offset:100 ; 4-byte Folded Spill
	v_add_f64 v[154:155], v[160:161], v[154:155]
	v_fma_f64 v[160:161], v[229:230], s[24:25], -v[14:15]
	v_mul_f64 v[14:15], v[177:178], s[28:29]
	buffer_store_dword v14, off, s[52:55], 0 offset:72 ; 4-byte Folded Spill
	s_nop 0
	buffer_store_dword v15, off, s[52:55], 0 offset:76 ; 4-byte Folded Spill
	v_add_f64 v[156:157], v[160:161], v[156:157]
	v_fma_f64 v[160:161], v[239:240], s[36:37], v[162:163]
	v_mul_f64 v[162:163], v[169:170], s[24:25]
	buffer_store_dword v162, off, s[52:55], 0 offset:88 ; 4-byte Folded Spill
	s_nop 0
	buffer_store_dword v163, off, s[52:55], 0 offset:92 ; 4-byte Folded Spill
	v_add_f64 v[158:159], v[160:161], v[158:159]
	v_fma_f64 v[160:161], v[243:244], s[24:25], -v[14:15]
	v_mul_f64 v[14:15], v[177:178], s[40:41]
	buffer_store_dword v14, off, s[52:55], 0 offset:112 ; 4-byte Folded Spill
	s_nop 0
	buffer_store_dword v15, off, s[52:55], 0 offset:116 ; 4-byte Folded Spill
	v_add_f64 v[148:149], v[160:161], v[148:149]
	v_fma_f64 v[160:161], v[253:254], s[28:29], v[162:163]
	v_mul_f64 v[162:163], v[169:170], s[34:35]
	;; [unrolled: 12-line block ×5, first 2 shown]
	buffer_store_dword v162, off, s[52:55], 0 offset:168 ; 4-byte Folded Spill
	s_nop 0
	buffer_store_dword v163, off, s[52:55], 0 offset:172 ; 4-byte Folded Spill
	v_add_f64 v[150:151], v[160:161], v[150:151]
	v_fma_f64 v[160:161], v[173:174], s[18:19], -v[14:15]
	v_mul_f64 v[14:15], v[185:186], s[10:11]
	v_add_f64 v[160:161], v[160:161], v[152:153]
	v_fma_f64 v[152:153], v[179:180], s[44:45], v[162:163]
	v_add_f64 v[162:163], v[152:153], v[154:155]
	v_fma_f64 v[152:153], v[173:174], s[10:11], -v[225:226]
	v_add_f64 v[200:201], v[152:153], v[156:157]
	v_fma_f64 v[152:153], v[179:180], s[16:17], v[14:15]
	v_add_f64 v[202:203], v[152:153], v[158:159]
	v_mul_f64 v[152:153], v[195:196], s[26:27]
	buffer_store_dword v152, off, s[52:55], 0 offset:176 ; 4-byte Folded Spill
	s_nop 0
	buffer_store_dword v153, off, s[52:55], 0 offset:180 ; 4-byte Folded Spill
	s_waitcnt vmcnt(0)
	s_barrier
	v_fma_f64 v[152:153], v[189:190], s[22:23], -v[152:153]
	v_add_f64 v[152:153], v[152:153], v[148:149]
	v_fma_f64 v[148:149], v[193:194], s[26:27], v[249:250]
	v_add_f64 v[154:155], v[148:149], v[150:151]
	v_fma_f64 v[148:149], v[189:190], s[8:9], -v[241:242]
	v_fma_f64 v[150:151], v[193:194], s[42:43], v[183:184]
	v_add_f64 v[156:157], v[148:149], v[160:161]
	v_fma_f64 v[148:149], v[193:194], s[38:39], v[171:172]
	v_add_f64 v[150:151], v[150:151], v[202:203]
	v_add_f64 v[158:159], v[148:149], v[162:163]
	v_fma_f64 v[148:149], v[189:190], s[34:35], -v[175:176]
	v_add_f64 v[148:149], v[148:149], v[200:201]
	s_and_saveexec_b64 s[30:31], s[0:1]
	s_cbranch_execz .LBB0_17
; %bb.16:
	v_mul_f64 v[160:161], v[181:182], s[8:9]
	v_mul_f64 v[162:163], v[209:210], s[26:27]
	;; [unrolled: 1-line block ×3, first 2 shown]
	v_mov_b32_e32 v204, v212
	v_mul_f64 v[200:201], v[179:180], s[28:29]
	v_mov_b32_e32 v168, v13
	v_mov_b32_e32 v13, v215
	v_add_f64 v[108:109], v[104:105], v[108:109]
	buffer_store_dword v160, off, s[52:55], 0 offset:200 ; 4-byte Folded Spill
	s_nop 0
	buffer_store_dword v161, off, s[52:55], 0 offset:204 ; 4-byte Folded Spill
	v_mul_f64 v[160:161], v[209:210], s[46:47]
	s_mov_b32 s47, 0x3fea55e2
	s_mov_b32 s46, s16
	v_add_f64 v[110:111], v[106:107], v[110:111]
	buffer_store_dword v160, off, s[52:55], 0 offset:232 ; 4-byte Folded Spill
	s_nop 0
	buffer_store_dword v161, off, s[52:55], 0 offset:236 ; 4-byte Folded Spill
	v_mul_f64 v[160:161], v[181:182], s[10:11]
	v_add_f64 v[108:109], v[108:109], v[112:113]
	v_add_f64 v[110:111], v[110:111], v[114:115]
	buffer_store_dword v160, off, s[52:55], 0 offset:208 ; 4-byte Folded Spill
	s_nop 0
	buffer_store_dword v161, off, s[52:55], 0 offset:212 ; 4-byte Folded Spill
	v_mul_f64 v[160:161], v[209:210], s[16:17]
	v_add_f64 v[108:109], v[108:109], v[124:125]
	;; [unrolled: 6-line block ×9, first 2 shown]
	v_add_f64 v[108:109], v[108:109], v[116:117]
	buffer_store_dword v160, off, s[52:55], 0 offset:256 ; 4-byte Folded Spill
	s_nop 0
	buffer_store_dword v161, off, s[52:55], 0 offset:260 ; 4-byte Folded Spill
	v_mul_f64 v[160:161], v[193:194], s[26:27]
	s_mov_b32 s27, 0x3fcea1e5
	v_add_f64 v[96:97], v[108:109], v[96:97]
	v_add_f64 v[110:111], v[110:111], v[98:99]
	buffer_store_dword v160, off, s[52:55], 0 offset:192 ; 4-byte Folded Spill
	s_nop 0
	buffer_store_dword v161, off, s[52:55], 0 offset:196 ; 4-byte Folded Spill
	buffer_store_dword v211, off, s[52:55], 0 offset:184 ; 4-byte Folded Spill
	;; [unrolled: 1-line block ×4, first 2 shown]
	s_nop 0
	buffer_store_dword v89, off, s[52:55], 0 offset:292 ; 4-byte Folded Spill
	v_mov_b32_e32 v12, v213
	v_mul_f64 v[213:214], v[235:236], s[38:39]
	v_fma_f64 v[88:89], v[191:192], s[22:23], v[162:163]
	buffer_store_dword v90, off, s[52:55], 0 offset:368 ; 4-byte Folded Spill
	s_nop 0
	buffer_store_dword v91, off, s[52:55], 0 offset:372 ; 4-byte Folded Spill
	buffer_store_dword v92, off, s[52:55], 0 offset:344 ; 4-byte Folded Spill
	s_nop 0
	buffer_store_dword v93, off, s[52:55], 0 offset:348 ; 4-byte Folded Spill
	;; [unrolled: 3-line block ×5, first 2 shown]
	v_mov_b32_e32 v164, v245
	v_mov_b32_e32 v165, v246
	;; [unrolled: 1-line block ×9, first 2 shown]
	buffer_store_dword v223, off, s[52:55], 0 offset:280 ; 4-byte Folded Spill
	s_nop 0
	buffer_store_dword v224, off, s[52:55], 0 offset:284 ; 4-byte Folded Spill
	v_mul_f64 v[90:91], v[239:240], s[42:43]
	v_mul_f64 v[92:93], v[227:228], s[38:39]
	v_mov_b32_e32 v233, v221
	v_mov_b32_e32 v232, v220
	;; [unrolled: 1-line block ×3, first 2 shown]
	v_fma_f64 v[219:220], v[181:182], s[22:23], -v[202:203]
	v_fma_f64 v[223:224], v[217:218], s[8:9], v[213:214]
	v_fma_f64 v[162:163], v[191:192], s[22:23], -v[162:163]
	v_add_f64 v[88:89], v[106:107], v[88:89]
	v_fma_f64 v[202:203], v[181:182], s[22:23], v[202:203]
	buffer_store_dword v0, off, s[52:55], 0 offset:296 ; 4-byte Folded Spill
	s_nop 0
	buffer_store_dword v1, off, s[52:55], 0 offset:300 ; 4-byte Folded Spill
	buffer_store_dword v2, off, s[52:55], 0 offset:304 ; 4-byte Folded Spill
	s_nop 0
	buffer_store_dword v3, off, s[52:55], 0 offset:308 ; 4-byte Folded Spill
	;; [unrolled: 3-line block ×4, first 2 shown]
	v_mul_f64 v[211:212], v[253:254], s[46:47]
	v_fma_f64 v[0:1], v[237:238], s[34:35], v[90:91]
	v_fma_f64 v[2:3], v[205:206], s[8:9], -v[92:93]
	v_add_f64 v[219:220], v[104:105], v[219:220]
	v_mul_f64 v[4:5], v[251:252], s[42:43]
	v_fma_f64 v[6:7], v[217:218], s[8:9], -v[213:214]
	v_add_f64 v[162:163], v[106:107], v[162:163]
	v_add_f64 v[88:89], v[223:224], v[88:89]
	v_fma_f64 v[92:93], v[205:206], s[8:9], v[92:93]
	v_add_f64 v[202:203], v[104:105], v[202:203]
	v_fma_f64 v[221:222], v[169:170], s[10:11], v[211:212]
	v_mul_f64 v[213:214], v[177:178], s[46:47]
	v_add_f64 v[2:3], v[2:3], v[219:220]
	v_fma_f64 v[219:220], v[229:230], s[34:35], -v[4:5]
	v_fma_f64 v[90:91], v[237:238], s[34:35], -v[90:91]
	v_add_f64 v[6:7], v[6:7], v[162:163]
	v_add_f64 v[0:1], v[0:1], v[88:89]
	v_fma_f64 v[4:5], v[229:230], s[34:35], v[4:5]
	v_add_f64 v[92:93], v[92:93], v[202:203]
	v_mul_f64 v[160:161], v[193:194], s[44:45]
	v_fma_f64 v[94:95], v[185:186], s[24:25], v[200:201]
	v_mul_f64 v[88:89], v[187:188], s[28:29]
	v_fma_f64 v[162:163], v[243:244], s[10:11], -v[213:214]
	v_add_f64 v[2:3], v[219:220], v[2:3]
	v_fma_f64 v[202:203], v[169:170], s[10:11], -v[211:212]
	v_add_f64 v[6:7], v[90:91], v[6:7]
	v_add_f64 v[0:1], v[221:222], v[0:1]
	v_fma_f64 v[211:212], v[243:244], s[10:11], v[213:214]
	v_add_f64 v[4:5], v[4:5], v[92:93]
	v_fma_f64 v[215:216], v[197:198], s[18:19], v[160:161]
	v_mul_f64 v[90:91], v[195:196], s[44:45]
	v_fma_f64 v[92:93], v[173:174], s[24:25], -v[88:89]
	v_add_f64 v[2:3], v[162:163], v[2:3]
	v_fma_f64 v[162:163], v[185:186], s[24:25], -v[200:201]
	v_add_f64 v[6:7], v[202:203], v[6:7]
	v_add_f64 v[0:1], v[94:95], v[0:1]
	v_fma_f64 v[88:89], v[173:174], s[24:25], v[88:89]
	v_mul_f64 v[94:95], v[209:210], s[42:43]
	v_add_f64 v[4:5], v[211:212], v[4:5]
	v_fma_f64 v[200:201], v[189:190], s[18:19], -v[90:91]
	v_add_f64 v[2:3], v[92:93], v[2:3]
	v_fma_f64 v[92:93], v[197:198], s[18:19], -v[160:161]
	v_add_f64 v[6:7], v[162:163], v[6:7]
	v_fma_f64 v[90:91], v[189:190], s[18:19], v[90:91]
	v_mul_f64 v[211:212], v[235:236], s[44:45]
	v_fma_f64 v[213:214], v[191:192], s[34:35], v[94:95]
	v_add_f64 v[4:5], v[88:89], v[4:5]
	v_add_f64 v[162:163], v[215:216], v[0:1]
	v_mul_f64 v[0:1], v[207:208], s[42:43]
	v_add_f64 v[160:161], v[200:201], v[2:3]
	v_add_f64 v[202:203], v[92:93], v[6:7]
	v_mul_f64 v[2:3], v[239:240], s[16:17]
	v_fma_f64 v[6:7], v[217:218], s[18:19], v[211:212]
	v_add_f64 v[88:89], v[106:107], v[213:214]
	v_add_f64 v[200:201], v[90:91], v[4:5]
	v_mul_f64 v[4:5], v[227:228], s[44:45]
	v_fma_f64 v[90:91], v[181:182], s[34:35], -v[0:1]
	v_fma_f64 v[92:93], v[191:192], s[34:35], -v[94:95]
	v_fma_f64 v[0:1], v[181:182], s[34:35], v[0:1]
	v_mul_f64 v[94:95], v[253:254], s[26:27]
	v_fma_f64 v[213:214], v[237:238], s[10:11], v[2:3]
	v_add_f64 v[6:7], v[6:7], v[88:89]
	v_mul_f64 v[88:89], v[251:252], s[16:17]
	v_fma_f64 v[215:216], v[205:206], s[18:19], -v[4:5]
	v_add_f64 v[90:91], v[104:105], v[90:91]
	v_fma_f64 v[211:212], v[217:218], s[18:19], -v[211:212]
	v_add_f64 v[92:93], v[106:107], v[92:93]
	v_fma_f64 v[4:5], v[205:206], s[18:19], v[4:5]
	v_add_f64 v[0:1], v[104:105], v[0:1]
	v_mul_f64 v[221:222], v[179:180], s[38:39]
	v_add_f64 v[6:7], v[213:214], v[6:7]
	v_fma_f64 v[213:214], v[169:170], s[22:23], v[94:95]
	v_add_f64 v[90:91], v[215:216], v[90:91]
	v_fma_f64 v[215:216], v[229:230], s[10:11], -v[88:89]
	v_add_f64 v[92:93], v[211:212], v[92:93]
	v_mul_f64 v[211:212], v[177:178], s[26:27]
	v_fma_f64 v[2:3], v[237:238], s[10:11], -v[2:3]
	v_fma_f64 v[88:89], v[229:230], s[10:11], v[88:89]
	v_add_f64 v[0:1], v[4:5], v[0:1]
	v_mul_f64 v[219:220], v[235:236], s[28:29]
	v_add_f64 v[6:7], v[213:214], v[6:7]
	v_fma_f64 v[213:214], v[185:186], s[8:9], v[221:222]
	v_add_f64 v[90:91], v[215:216], v[90:91]
	v_mul_f64 v[215:216], v[193:194], s[28:29]
	v_fma_f64 v[4:5], v[243:244], s[22:23], -v[211:212]
	v_add_f64 v[2:3], v[2:3], v[92:93]
	v_mul_f64 v[92:93], v[187:188], s[38:39]
	v_fma_f64 v[94:95], v[169:170], s[22:23], -v[94:95]
	v_fma_f64 v[211:212], v[243:244], s[22:23], v[211:212]
	v_add_f64 v[0:1], v[88:89], v[0:1]
	buffer_store_dword v219, off, s[52:55], 0 offset:376 ; 4-byte Folded Spill
	s_nop 0
	buffer_store_dword v220, off, s[52:55], 0 offset:380 ; 4-byte Folded Spill
	buffer_store_dword v10, off, s[52:55], 0 offset:384 ; 4-byte Folded Spill
	s_nop 0
	buffer_store_dword v11, off, s[52:55], 0 offset:388 ; 4-byte Folded Spill
	v_add_f64 v[6:7], v[213:214], v[6:7]
	v_fma_f64 v[88:89], v[197:198], s[24:25], v[215:216]
	v_add_f64 v[4:5], v[4:5], v[90:91]
	v_fma_f64 v[90:91], v[173:174], s[8:9], -v[92:93]
	v_add_f64 v[2:3], v[94:95], v[2:3]
	v_fma_f64 v[10:11], v[185:186], s[8:9], -v[221:222]
	v_mul_f64 v[94:95], v[195:196], s[28:29]
	v_add_f64 v[0:1], v[211:212], v[0:1]
	v_fma_f64 v[92:93], v[173:174], s[8:9], v[92:93]
	v_mov_b32_e32 v220, v9
	v_mov_b32_e32 v219, v8
	v_mul_f64 v[8:9], v[209:210], s[28:29]
	v_add_f64 v[4:5], v[90:91], v[4:5]
	v_add_f64 v[209:210], v[88:89], v[6:7]
	;; [unrolled: 1-line block ×3, first 2 shown]
	v_fma_f64 v[6:7], v[189:190], s[24:25], -v[94:95]
	v_fma_f64 v[10:11], v[197:198], s[24:25], -v[215:216]
	v_add_f64 v[0:1], v[92:93], v[0:1]
	v_mul_f64 v[92:93], v[207:208], s[28:29]
	v_mul_f64 v[221:222], v[235:236], s[40:41]
	v_fma_f64 v[90:91], v[191:192], s[24:25], v[8:9]
	v_fma_f64 v[94:95], v[189:190], s[24:25], v[94:95]
	v_fma_f64 v[8:9], v[191:192], s[24:25], -v[8:9]
	v_add_f64 v[207:208], v[6:7], v[4:5]
	v_add_f64 v[213:214], v[10:11], v[2:3]
	v_mul_f64 v[2:3], v[227:228], s[40:41]
	v_fma_f64 v[6:7], v[181:182], s[24:25], -v[92:93]
	v_fma_f64 v[88:89], v[217:218], s[34:35], v[221:222]
	v_add_f64 v[90:91], v[106:107], v[90:91]
	v_mul_f64 v[215:216], v[239:240], s[38:39]
	v_add_f64 v[211:212], v[94:95], v[0:1]
	v_mul_f64 v[191:192], v[251:252], s[38:39]
	v_fma_f64 v[217:218], v[217:218], s[34:35], -v[221:222]
	v_fma_f64 v[94:95], v[205:206], s[34:35], -v[2:3]
	v_add_f64 v[6:7], v[104:105], v[6:7]
	v_add_f64 v[8:9], v[106:107], v[8:9]
	v_mul_f64 v[4:5], v[253:254], s[20:21]
	v_add_f64 v[10:11], v[88:89], v[90:91]
	v_fma_f64 v[88:89], v[237:238], s[8:9], v[215:216]
	v_fma_f64 v[215:216], v[237:238], s[8:9], -v[215:216]
	v_fma_f64 v[92:93], v[181:182], s[24:25], v[92:93]
	v_mul_f64 v[223:224], v[205:206], s[22:23]
	v_add_f64 v[6:7], v[94:95], v[6:7]
	v_fma_f64 v[94:95], v[229:230], s[8:9], -v[191:192]
	v_add_f64 v[8:9], v[217:218], v[8:9]
	v_fma_f64 v[90:91], v[169:170], s[18:19], v[4:5]
	v_fma_f64 v[4:5], v[169:170], s[18:19], -v[4:5]
	v_add_f64 v[10:11], v[88:89], v[10:11]
	v_mul_f64 v[177:178], v[177:178], s[20:21]
	v_fma_f64 v[2:3], v[205:206], s[34:35], v[2:3]
	v_add_f64 v[92:93], v[104:105], v[92:93]
	v_add_f64 v[6:7], v[94:95], v[6:7]
	v_mul_f64 v[94:95], v[179:180], s[26:27]
	v_add_f64 v[8:9], v[215:216], v[8:9]
	v_mul_f64 v[205:206], v[193:194], s[46:47]
	;; [unrolled: 2-line block ×3, first 2 shown]
	v_fma_f64 v[217:218], v[243:244], s[18:19], -v[177:178]
	v_mul_f64 v[181:182], v[243:244], s[34:35]
	v_add_f64 v[2:3], v[2:3], v[92:93]
	v_fma_f64 v[169:170], v[185:186], s[22:23], v[94:95]
	v_fma_f64 v[94:95], v[185:186], s[22:23], -v[94:95]
	v_add_f64 v[4:5], v[4:5], v[8:9]
	v_mul_f64 v[185:186], v[243:244], s[8:9]
	v_fma_f64 v[92:93], v[197:198], s[10:11], v[205:206]
	v_fma_f64 v[197:198], v[197:198], s[10:11], -v[205:206]
	v_fma_f64 v[177:178], v[243:244], s[18:19], v[177:178]
	buffer_load_dword v243, off, s[52:55], 0 offset:56 ; 4-byte Folded Reload
	buffer_load_dword v244, off, s[52:55], 0 offset:60 ; 4-byte Folded Reload
	;; [unrolled: 1-line block ×4, first 2 shown]
	v_add_f64 v[10:11], v[169:170], v[10:11]
	v_fma_f64 v[191:192], v[229:230], s[8:9], v[191:192]
	v_add_f64 v[4:5], v[94:95], v[4:5]
	v_mul_f64 v[187:188], v[187:188], s[26:27]
	v_mul_f64 v[88:89], v[239:240], s[20:21]
	;; [unrolled: 1-line block ×6, first 2 shown]
	v_add_f64 v[2:3], v[191:192], v[2:3]
	v_add_f64 v[169:170], v[197:198], v[4:5]
	buffer_load_dword v4, off, s[52:55], 0 offset:104 ; 4-byte Folded Reload
	buffer_load_dword v5, off, s[52:55], 0 offset:108 ; 4-byte Folded Reload
	;; [unrolled: 1-line block ×4, first 2 shown]
	v_fma_f64 v[239:240], v[173:174], s[22:23], -v[187:188]
	v_mul_f64 v[191:192], v[173:174], s[10:11]
	v_fma_f64 v[173:174], v[173:174], s[22:23], v[187:188]
	v_mul_f64 v[237:238], v[253:254], s[28:29]
	v_mul_f64 v[215:216], v[253:254], s[40:41]
	v_add_f64 v[2:3], v[177:178], v[2:3]
	v_add_f64 v[6:7], v[217:218], v[6:7]
	v_mul_f64 v[217:218], v[253:254], s[38:39]
	v_mul_f64 v[253:254], v[189:190], s[8:9]
	;; [unrolled: 1-line block ×3, first 2 shown]
	v_fma_f64 v[177:178], v[189:190], s[10:11], -v[195:196]
	v_mul_f64 v[0:1], v[229:230], s[18:19]
	v_mul_f64 v[221:222], v[229:230], s[22:23]
	v_add_f64 v[2:3], v[173:174], v[2:3]
	v_mul_f64 v[90:91], v[229:230], s[24:25]
	v_mul_f64 v[229:230], v[179:180], s[42:43]
	;; [unrolled: 1-line block ×4, first 2 shown]
	v_add_f64 v[6:7], v[239:240], v[6:7]
	v_mul_f64 v[239:240], v[193:194], s[38:39]
	v_mul_f64 v[193:194], v[193:194], s[42:43]
	v_add_f64 v[116:117], v[253:254], v[241:242]
	v_add_f64 v[124:125], v[14:15], -v[179:180]
	v_add_f64 v[132:133], v[183:184], -v[193:194]
	s_waitcnt vmcnt(4)
	v_add_f64 v[243:244], v[243:244], -v[251:252]
	v_mul_f64 v[251:252], v[189:190], s[22:23]
	v_fma_f64 v[189:190], v[189:190], s[10:11], v[195:196]
	s_waitcnt vmcnt(0)
	v_add_f64 v[4:5], v[4:5], -v[197:198]
	v_add_f64 v[197:198], v[106:107], v[243:244]
	buffer_load_dword v195, off, s[52:55], 0 offset:312 ; 4-byte Folded Reload
	buffer_load_dword v196, off, s[52:55], 0 offset:316 ; 4-byte Folded Reload
	;; [unrolled: 1-line block ×6, first 2 shown]
	v_add_f64 v[4:5], v[4:5], v[197:198]
	s_waitcnt vmcnt(2)
	v_add_f64 v[195:196], v[243:244], -v[195:196]
	s_waitcnt vmcnt(0)
	v_add_f64 v[173:174], v[173:174], -v[227:228]
	buffer_load_dword v227, off, s[52:55], 0 offset:248 ; 4-byte Folded Reload
	buffer_load_dword v228, off, s[52:55], 0 offset:252 ; 4-byte Folded Reload
	v_add_f64 v[195:196], v[106:107], v[195:196]
	v_add_f64 v[4:5], v[173:174], v[4:5]
	s_waitcnt vmcnt(0)
	v_add_f64 v[227:228], v[227:228], v[219:220]
	buffer_load_dword v197, off, s[52:55], 0 offset:344 ; 4-byte Folded Reload
	buffer_load_dword v198, off, s[52:55], 0 offset:348 ; 4-byte Folded Reload
	;; [unrolled: 1-line block ×8, first 2 shown]
	s_waitcnt vmcnt(4)
	v_add_f64 v[197:198], v[197:198], -v[219:220]
	buffer_load_dword v173, off, s[52:55], 0 offset:64 ; 4-byte Folded Reload
	buffer_load_dword v174, off, s[52:55], 0 offset:68 ; 4-byte Folded Reload
	;; [unrolled: 1-line block ×6, first 2 shown]
	s_waitcnt vmcnt(8)
	v_add_f64 v[112:113], v[112:113], -v[217:218]
	s_waitcnt vmcnt(6)
	v_add_f64 v[114:115], v[223:224], v[114:115]
	v_add_f64 v[217:218], v[104:105], v[227:228]
	;; [unrolled: 1-line block ×8, first 2 shown]
	s_waitcnt vmcnt(2)
	v_add_f64 v[173:174], v[173:174], -v[219:220]
	s_waitcnt vmcnt(0)
	v_add_f64 v[90:91], v[90:91], v[14:15]
	buffer_load_dword v14, off, s[52:55], 0 offset:120 ; 4-byte Folded Reload
	buffer_load_dword v15, off, s[52:55], 0 offset:124 ; 4-byte Folded Reload
	v_add_f64 v[126:127], v[173:174], v[195:196]
	v_add_f64 v[90:91], v[90:91], v[114:115]
	;; [unrolled: 1-line block ×3, first 2 shown]
	s_waitcnt vmcnt(0)
	v_add_f64 v[112:113], v[14:15], -v[215:216]
	buffer_load_dword v14, off, s[52:55], 0 offset:128 ; 4-byte Folded Reload
	buffer_load_dword v15, off, s[52:55], 0 offset:132 ; 4-byte Folded Reload
	v_mov_b32_e32 v215, v13
	v_mov_b32_e32 v13, v168
	v_add_f64 v[112:113], v[112:113], v[126:127]
	v_add_f64 v[126:127], v[171:172], -v[239:240]
	s_waitcnt vmcnt(0)
	v_add_f64 v[134:135], v[185:186], v[14:15]
	buffer_load_dword v14, off, s[52:55], 0 offset:168 ; 4-byte Folded Reload
	buffer_load_dword v15, off, s[52:55], 0 offset:172 ; 4-byte Folded Reload
	v_add_f64 v[90:91], v[134:135], v[90:91]
	v_add_f64 v[90:91], v[124:125], v[90:91]
	s_waitcnt vmcnt(0)
	v_add_f64 v[94:95], v[14:15], -v[94:95]
	buffer_load_dword v14, off, s[52:55], 0 offset:232 ; 4-byte Folded Reload
	buffer_load_dword v15, off, s[52:55], 0 offset:236 ; 4-byte Folded Reload
	;; [unrolled: 1-line block ×4, first 2 shown]
	v_add_f64 v[94:95], v[94:95], v[112:113]
	s_waitcnt vmcnt(0)
	v_add_f64 v[134:135], v[134:135], -v[14:15]
	buffer_load_dword v14, off, s[52:55], 0 offset:200 ; 4-byte Folded Reload
	buffer_load_dword v15, off, s[52:55], 0 offset:204 ; 4-byte Folded Reload
	buffer_load_dword v112, off, s[52:55], 0 offset:296 ; 4-byte Folded Reload
	buffer_load_dword v113, off, s[52:55], 0 offset:300 ; 4-byte Folded Reload
	v_add_f64 v[106:107], v[106:107], v[134:135]
	s_waitcnt vmcnt(0)
	v_add_f64 v[112:113], v[14:15], v[112:113]
	buffer_load_dword v14, off, s[52:55], 0 offset:208 ; 4-byte Folded Reload
	buffer_load_dword v15, off, s[52:55], 0 offset:212 ; 4-byte Folded Reload
	buffer_load_dword v136, off, s[52:55], 0 offset:336 ; 4-byte Folded Reload
	buffer_load_dword v137, off, s[52:55], 0 offset:340 ; 4-byte Folded Reload
	v_add_f64 v[112:113], v[104:105], v[112:113]
	s_waitcnt vmcnt(0)
	v_add_f64 v[136:137], v[14:15], v[136:137]
	;; [unrolled: 7-line block ×3, first 2 shown]
	buffer_load_dword v14, off, s[52:55], 0 offset:224 ; 4-byte Folded Reload
	buffer_load_dword v15, off, s[52:55], 0 offset:228 ; 4-byte Folded Reload
	buffer_load_dword v144, off, s[52:55], 0 offset:384 ; 4-byte Folded Reload
	buffer_load_dword v145, off, s[52:55], 0 offset:388 ; 4-byte Folded Reload
	v_add_f64 v[104:105], v[138:139], v[104:105]
	s_waitcnt vmcnt(0)
	v_add_f64 v[144:145], v[144:145], -v[14:15]
	buffer_load_dword v14, off, s[52:55], 0 offset:216 ; 4-byte Folded Reload
	buffer_load_dword v15, off, s[52:55], 0 offset:220 ; 4-byte Folded Reload
	;; [unrolled: 1-line block ×4, first 2 shown]
	v_add_f64 v[106:107], v[144:145], v[106:107]
	s_waitcnt vmcnt(0)
	v_add_f64 v[134:135], v[14:15], v[134:135]
	buffer_load_dword v14, off, s[52:55], 0 offset:280 ; 4-byte Folded Reload
	buffer_load_dword v15, off, s[52:55], 0 offset:284 ; 4-byte Folded Reload
	v_add_f64 v[112:113], v[134:135], v[112:113]
	s_waitcnt vmcnt(0)
	v_add_f64 v[136:137], v[221:222], v[14:15]
	buffer_load_dword v14, off, s[52:55], 0 offset:272 ; 4-byte Folded Reload
	buffer_load_dword v15, off, s[52:55], 0 offset:276 ; 4-byte Folded Reload
	v_mov_b32_e32 v219, v231
	v_mov_b32_e32 v220, v232
	v_mov_b32_e32 v221, v233
	v_mov_b32_e32 v222, v234
	v_mov_b32_e32 v231, v245
	v_mov_b32_e32 v232, v246
	v_add_f64 v[104:105], v[136:137], v[104:105]
	v_mov_b32_e32 v233, v247
	v_mov_b32_e32 v234, v248
	;; [unrolled: 1-line block ×6, first 2 shown]
	v_add_f64 v[167:168], v[189:190], v[2:3]
	s_waitcnt vmcnt(0)
	v_add_f64 v[88:89], v[14:15], -v[88:89]
	buffer_load_dword v14, off, s[52:55], 0 offset:264 ; 4-byte Folded Reload
	buffer_load_dword v15, off, s[52:55], 0 offset:268 ; 4-byte Folded Reload
	v_add_f64 v[88:89], v[88:89], v[106:107]
	s_waitcnt vmcnt(0)
	v_add_f64 v[0:1], v[0:1], v[14:15]
	buffer_load_dword v14, off, s[52:55], 0 offset:112 ; 4-byte Folded Reload
	buffer_load_dword v15, off, s[52:55], 0 offset:116 ; 4-byte Folded Reload
	v_add_f64 v[0:1], v[0:1], v[112:113]
	s_waitcnt vmcnt(0)
	v_add_f64 v[128:129], v[181:182], v[14:15]
	buffer_load_dword v14, off, s[52:55], 0 offset:88 ; 4-byte Folded Reload
	buffer_load_dword v15, off, s[52:55], 0 offset:92 ; 4-byte Folded Reload
	v_add_f64 v[104:105], v[128:129], v[104:105]
	s_waitcnt vmcnt(0)
	v_add_f64 v[130:131], v[14:15], -v[237:238]
	buffer_load_dword v14, off, s[52:55], 0 offset:72 ; 4-byte Folded Reload
	buffer_load_dword v15, off, s[52:55], 0 offset:76 ; 4-byte Folded Reload
	v_add_f64 v[88:89], v[130:131], v[88:89]
	s_waitcnt vmcnt(0)
	v_add_f64 v[106:107], v[235:236], v[14:15]
	buffer_load_dword v14, off, s[52:55], 0 offset:160 ; 4-byte Folded Reload
	buffer_load_dword v15, off, s[52:55], 0 offset:164 ; 4-byte Folded Reload
	v_add_f64 v[0:1], v[106:107], v[0:1]
	s_waitcnt vmcnt(0)
	v_add_f64 v[112:113], v[205:206], v[14:15]
	buffer_load_dword v14, off, s[52:55], 0 offset:144 ; 4-byte Folded Reload
	buffer_load_dword v15, off, s[52:55], 0 offset:148 ; 4-byte Folded Reload
	s_waitcnt vmcnt(0)
	v_add_f64 v[120:121], v[14:15], -v[229:230]
	buffer_load_dword v14, off, s[52:55], 0 offset:136 ; 4-byte Folded Reload
	buffer_load_dword v15, off, s[52:55], 0 offset:140 ; 4-byte Folded Reload
	v_add_f64 v[88:89], v[120:121], v[88:89]
	s_waitcnt vmcnt(0)
	v_add_f64 v[8:9], v[8:9], v[14:15]
	buffer_load_dword v14, off, s[52:55], 0 offset:192 ; 4-byte Folded Reload
	buffer_load_dword v15, off, s[52:55], 0 offset:196 ; 4-byte Folded Reload
	v_add_f64 v[0:1], v[8:9], v[0:1]
	v_add_f64 v[8:9], v[112:113], v[104:105]
	;; [unrolled: 1-line block ×9, first 2 shown]
	s_waitcnt vmcnt(0)
	v_add_f64 v[106:107], v[249:250], -v[14:15]
	buffer_load_dword v14, off, s[52:55], 0 offset:176 ; 4-byte Folded Reload
	buffer_load_dword v15, off, s[52:55], 0 offset:180 ; 4-byte Folded Reload
	v_add_f64 v[108:109], v[106:107], v[88:89]
	s_waitcnt vmcnt(0)
	v_add_f64 v[118:119], v[251:252], v[14:15]
	v_add_f64 v[106:107], v[118:119], v[0:1]
	buffer_load_dword v0, off, s[52:55], 0 offset:32 ; 4-byte Folded Reload
	s_waitcnt vmcnt(0)
	v_lshl_add_u32 v0, v0, 4, v215
	ds_write_b128 v0, v[110:113]
	ds_write_b128 v0, v[106:109] offset:16
	ds_write_b128 v0, v[102:105] offset:32
	;; [unrolled: 1-line block ×5, first 2 shown]
	v_mov_b32_e32 v213, v12
	buffer_load_dword v12, off, s[52:55], 0 offset:188 ; 4-byte Folded Reload
	buffer_load_dword v211, off, s[52:55], 0 offset:184 ; 4-byte Folded Reload
	v_mov_b32_e32 v212, v204
	ds_write_b128 v0, v[200:203] offset:96
	ds_write_b128 v0, v[160:163] offset:112
	;; [unrolled: 1-line block ×7, first 2 shown]
.LBB0_17:
	s_or_b64 exec, exec, s[30:31]
	s_waitcnt vmcnt(0) lgkmcnt(0)
	s_barrier
	ds_read_b128 v[100:103], v255
	ds_read_b128 v[96:99], v255 offset:1040
	ds_read_b128 v[124:127], v255 offset:2288
	ds_read_b128 v[116:119], v255 offset:3328
	ds_read_b128 v[128:131], v255 offset:4576
	ds_read_b128 v[112:115], v255 offset:5616
	ds_read_b128 v[132:135], v255 offset:6864
	ds_read_b128 v[108:111], v255 offset:7904
	ds_read_b128 v[120:123], v255 offset:9152
	ds_read_b128 v[104:107], v255 offset:10192
	s_and_saveexec_b64 s[8:9], s[2:3]
	s_cbranch_execz .LBB0_19
; %bb.18:
	ds_read_b128 v[148:151], v255 offset:2080
	ds_read_b128 v[156:159], v255 offset:4368
	;; [unrolled: 1-line block ×4, first 2 shown]
	s_waitcnt lgkmcnt(0)
	buffer_store_dword v0, off, s[52:55], 0 ; 4-byte Folded Spill
	s_nop 0
	buffer_store_dword v1, off, s[52:55], 0 offset:4 ; 4-byte Folded Spill
	buffer_store_dword v2, off, s[52:55], 0 offset:8 ; 4-byte Folded Spill
	;; [unrolled: 1-line block ×3, first 2 shown]
	ds_read_b128 v[0:3], v255 offset:11232
	s_waitcnt lgkmcnt(0)
	buffer_store_dword v0, off, s[52:55], 0 offset:16 ; 4-byte Folded Spill
	s_nop 0
	buffer_store_dword v1, off, s[52:55], 0 offset:20 ; 4-byte Folded Spill
	buffer_store_dword v2, off, s[52:55], 0 offset:24 ; 4-byte Folded Spill
	;; [unrolled: 1-line block ×3, first 2 shown]
.LBB0_19:
	s_or_b64 exec, exec, s[8:9]
	s_waitcnt lgkmcnt(7)
	v_mul_f64 v[0:1], v[34:35], v[126:127]
	s_waitcnt lgkmcnt(5)
	v_mul_f64 v[4:5], v[30:31], v[130:131]
	;; [unrolled: 2-line block ×3, first 2 shown]
	v_mul_f64 v[10:11], v[26:27], v[132:133]
	s_waitcnt lgkmcnt(1)
	v_mul_f64 v[26:27], v[22:23], v[122:123]
	v_mul_f64 v[22:23], v[22:23], v[120:121]
	;; [unrolled: 1-line block ×4, first 2 shown]
	v_fma_f64 v[0:1], v[32:33], v[124:125], v[0:1]
	v_fma_f64 v[4:5], v[28:29], v[128:129], v[4:5]
	;; [unrolled: 1-line block ×3, first 2 shown]
	v_fma_f64 v[10:11], v[24:25], v[134:135], -v[10:11]
	v_mul_f64 v[24:25], v[46:47], v[118:119]
	v_fma_f64 v[26:27], v[20:21], v[120:121], v[26:27]
	v_fma_f64 v[22:23], v[20:21], v[122:123], -v[22:23]
	v_mul_f64 v[20:21], v[46:47], v[116:117]
	v_add_f64 v[30:31], v[100:101], v[0:1]
	v_fma_f64 v[2:3], v[32:33], v[126:127], -v[2:3]
	v_fma_f64 v[6:7], v[28:29], v[130:131], -v[6:7]
	v_mul_f64 v[28:29], v[42:43], v[114:115]
	v_mul_f64 v[32:33], v[42:43], v[112:113]
	v_add_f64 v[34:35], v[4:5], v[8:9]
	v_fma_f64 v[42:43], v[44:45], v[116:117], v[24:25]
	v_mul_f64 v[24:25], v[38:39], v[110:111]
	v_fma_f64 v[44:45], v[44:45], v[118:119], -v[20:21]
	v_add_f64 v[20:21], v[30:31], v[4:5]
	v_mul_f64 v[38:39], v[38:39], v[108:109]
	v_fma_f64 v[46:47], v[40:41], v[112:113], v[28:29]
	v_add_f64 v[30:31], v[2:3], -v[22:23]
	v_fma_f64 v[28:29], v[34:35], -0.5, v[100:101]
	v_add_f64 v[92:93], v[0:1], v[26:27]
	v_fma_f64 v[90:91], v[36:37], v[108:109], v[24:25]
	s_waitcnt lgkmcnt(0)
	v_mul_f64 v[24:25], v[18:19], v[106:107]
	v_mul_f64 v[18:19], v[18:19], v[104:105]
	v_add_f64 v[20:21], v[20:21], v[8:9]
	s_mov_b32 s8, 0x134454ff
	s_mov_b32 s9, 0xbfee6f0e
	;; [unrolled: 1-line block ×4, first 2 shown]
	v_fma_f64 v[88:89], v[40:41], v[114:115], -v[32:33]
	v_fma_f64 v[38:39], v[36:37], v[110:111], -v[38:39]
	v_fma_f64 v[32:33], v[30:31], s[8:9], v[28:29]
	v_add_f64 v[34:35], v[6:7], -v[10:11]
	v_add_f64 v[36:37], v[0:1], -v[4:5]
	;; [unrolled: 1-line block ×3, first 2 shown]
	v_fma_f64 v[94:95], v[16:17], v[104:105], v[24:25]
	v_fma_f64 v[104:105], v[16:17], v[106:107], -v[18:19]
	v_add_f64 v[16:17], v[20:21], v[26:27]
	v_fma_f64 v[20:21], v[92:93], -0.5, v[100:101]
	v_fma_f64 v[28:29], v[30:31], s[20:21], v[28:29]
	s_mov_b32 s16, 0x4755a5e
	s_mov_b32 s17, 0xbfe2cf23
	;; [unrolled: 1-line block ×4, first 2 shown]
	v_fma_f64 v[18:19], v[34:35], s[16:17], v[32:33]
	v_add_f64 v[24:25], v[36:37], v[40:41]
	v_add_f64 v[32:33], v[102:103], v[2:3]
	;; [unrolled: 1-line block ×3, first 2 shown]
	v_fma_f64 v[40:41], v[34:35], s[20:21], v[20:21]
	v_add_f64 v[92:93], v[4:5], -v[0:1]
	v_add_f64 v[100:101], v[8:9], -v[26:27]
	v_fma_f64 v[28:29], v[34:35], s[18:19], v[28:29]
	v_fma_f64 v[34:35], v[34:35], s[8:9], v[20:21]
	s_mov_b32 s10, 0x372fe950
	s_mov_b32 s11, 0x3fd3c6ef
	v_add_f64 v[32:33], v[32:33], v[6:7]
	v_fma_f64 v[36:37], v[36:37], -0.5, v[102:103]
	v_add_f64 v[0:1], v[0:1], -v[26:27]
	v_fma_f64 v[26:27], v[30:31], s[16:17], v[40:41]
	v_add_f64 v[40:41], v[92:93], v[100:101]
	v_fma_f64 v[20:21], v[24:25], s[10:11], v[18:19]
	v_fma_f64 v[18:19], v[30:31], s[18:19], v[34:35]
	v_add_f64 v[34:35], v[2:3], v[22:23]
	v_fma_f64 v[24:25], v[24:25], s[10:11], v[28:29]
	v_add_f64 v[30:31], v[32:33], v[10:11]
	v_fma_f64 v[92:93], v[0:1], s[20:21], v[36:37]
	v_add_f64 v[4:5], v[4:5], -v[8:9]
	v_fma_f64 v[28:29], v[40:41], s[10:11], v[26:27]
	v_add_f64 v[8:9], v[46:47], v[90:91]
	v_add_f64 v[26:27], v[2:3], -v[6:7]
	v_add_f64 v[100:101], v[22:23], -v[10:11]
	v_fma_f64 v[34:35], v[34:35], -0.5, v[102:103]
	v_fma_f64 v[32:33], v[40:41], s[10:11], v[18:19]
	v_add_f64 v[18:19], v[30:31], v[22:23]
	v_fma_f64 v[30:31], v[4:5], s[18:19], v[92:93]
	v_add_f64 v[40:41], v[96:97], v[42:43]
	v_fma_f64 v[8:9], v[8:9], -0.5, v[96:97]
	v_add_f64 v[92:93], v[44:45], -v[104:105]
	v_add_f64 v[26:27], v[26:27], v[100:101]
	v_fma_f64 v[100:101], v[4:5], s[8:9], v[34:35]
	v_add_f64 v[2:3], v[6:7], -v[2:3]
	v_add_f64 v[6:7], v[10:11], -v[22:23]
	v_fma_f64 v[10:11], v[4:5], s[20:21], v[34:35]
	v_fma_f64 v[36:37], v[0:1], s[8:9], v[36:37]
	v_add_f64 v[22:23], v[40:41], v[46:47]
	v_fma_f64 v[34:35], v[92:93], s[8:9], v[8:9]
	v_add_f64 v[102:103], v[88:89], -v[38:39]
	v_add_f64 v[40:41], v[42:43], -v[46:47]
	;; [unrolled: 1-line block ×3, first 2 shown]
	v_fma_f64 v[100:101], v[0:1], s[18:19], v[100:101]
	v_add_f64 v[2:3], v[2:3], v[6:7]
	v_fma_f64 v[0:1], v[0:1], s[16:17], v[10:11]
	v_fma_f64 v[4:5], v[4:5], s[16:17], v[36:37]
	v_add_f64 v[36:37], v[42:43], v[94:95]
	v_add_f64 v[6:7], v[22:23], v[90:91]
	v_fma_f64 v[10:11], v[102:103], s[16:17], v[34:35]
	v_add_f64 v[106:107], v[40:41], v[106:107]
	v_fma_f64 v[22:23], v[26:27], s[10:11], v[30:31]
	v_fma_f64 v[30:31], v[2:3], s[10:11], v[100:101]
	;; [unrolled: 1-line block ×3, first 2 shown]
	v_add_f64 v[0:1], v[88:89], v[38:39]
	v_fma_f64 v[2:3], v[92:93], s[20:21], v[8:9]
	v_add_f64 v[8:9], v[44:45], v[104:105]
	v_add_f64 v[100:101], v[98:99], v[44:45]
	v_fma_f64 v[96:97], v[36:37], -0.5, v[96:97]
	v_add_f64 v[36:37], v[6:7], v[94:95]
	v_fma_f64 v[40:41], v[106:107], s[10:11], v[10:11]
	v_add_f64 v[6:7], v[46:47], -v[42:43]
	v_add_f64 v[10:11], v[90:91], -v[94:95]
	v_fma_f64 v[0:1], v[0:1], -0.5, v[98:99]
	v_add_f64 v[42:43], v[42:43], -v[94:95]
	v_add_f64 v[46:47], v[46:47], -v[90:91]
	v_fma_f64 v[8:9], v[8:9], -0.5, v[98:99]
	v_add_f64 v[90:91], v[100:101], v[88:89]
	v_fma_f64 v[26:27], v[26:27], s[10:11], v[4:5]
	v_fma_f64 v[4:5], v[102:103], s[20:21], v[96:97]
	v_add_f64 v[6:7], v[6:7], v[10:11]
	v_fma_f64 v[10:11], v[102:103], s[8:9], v[96:97]
	v_fma_f64 v[94:95], v[42:43], s[20:21], v[0:1]
	v_add_f64 v[96:97], v[44:45], -v[88:89]
	v_add_f64 v[98:99], v[104:105], -v[38:39]
	v_fma_f64 v[100:101], v[46:47], s[8:9], v[8:9]
	v_add_f64 v[44:45], v[88:89], -v[44:45]
	v_add_f64 v[88:89], v[38:39], -v[104:105]
	v_fma_f64 v[0:1], v[42:43], s[8:9], v[0:1]
	v_fma_f64 v[8:9], v[46:47], s[20:21], v[8:9]
	v_add_f64 v[38:39], v[90:91], v[38:39]
	v_fma_f64 v[4:5], v[92:93], s[16:17], v[4:5]
	v_fma_f64 v[10:11], v[92:93], s[18:19], v[10:11]
	;; [unrolled: 1-line block ×3, first 2 shown]
	v_add_f64 v[92:93], v[96:97], v[98:99]
	v_fma_f64 v[94:95], v[42:43], s[18:19], v[100:101]
	v_add_f64 v[88:89], v[44:45], v[88:89]
	v_fma_f64 v[2:3], v[102:103], s[18:19], v[2:3]
	v_fma_f64 v[0:1], v[46:47], s[16:17], v[0:1]
	;; [unrolled: 1-line block ×3, first 2 shown]
	v_add_f64 v[38:39], v[38:39], v[104:105]
	v_fma_f64 v[96:97], v[6:7], s[10:11], v[4:5]
	v_fma_f64 v[42:43], v[92:93], s[10:11], v[90:91]
	;; [unrolled: 1-line block ×7, first 2 shown]
	s_waitcnt vmcnt(0)
	s_barrier
	ds_write_b128 v12, v[16:19]
	ds_write_b128 v12, v[20:23] offset:208
	ds_write_b128 v12, v[28:31] offset:416
	;; [unrolled: 1-line block ×4, first 2 shown]
	ds_write_b128 v13, v[36:39]
	ds_write_b128 v13, v[40:43] offset:208
	ds_write_b128 v13, v[96:99] offset:416
	;; [unrolled: 1-line block ×4, first 2 shown]
	s_and_saveexec_b64 s[22:23], s[2:3]
	s_cbranch_execz .LBB0_21
; %bb.20:
	buffer_load_dword v12, off, s[52:55], 0 offset:40 ; 4-byte Folded Reload
	buffer_load_dword v13, off, s[52:55], 0 offset:44 ; 4-byte Folded Reload
	;; [unrolled: 1-line block ×8, first 2 shown]
	buffer_load_dword v20, off, s[52:55], 0 ; 4-byte Folded Reload
	buffer_load_dword v21, off, s[52:55], 0 offset:4 ; 4-byte Folded Reload
	buffer_load_dword v22, off, s[52:55], 0 offset:8 ; 4-byte Folded Reload
	;; [unrolled: 1-line block ×3, first 2 shown]
	v_mul_f64 v[2:3], v[221:222], v[156:157]
	v_fma_f64 v[2:3], v[219:220], v[158:159], -v[2:3]
	v_add_f64 v[32:33], v[150:151], v[2:3]
	s_waitcnt vmcnt(8)
	v_mul_f64 v[0:1], v[14:15], v[152:153]
	s_waitcnt vmcnt(6)
	v_mul_f64 v[4:5], v[233:234], v[24:25]
	;; [unrolled: 2-line block ×3, first 2 shown]
	v_mul_f64 v[8:9], v[14:15], v[154:155]
	s_waitcnt vmcnt(0)
	v_mul_f64 v[10:11], v[247:248], v[22:23]
	v_mul_f64 v[14:15], v[221:222], v[158:159]
	;; [unrolled: 1-line block ×3, first 2 shown]
	v_fma_f64 v[0:1], v[12:13], v[154:155], -v[0:1]
	v_fma_f64 v[4:5], v[231:232], v[26:27], -v[4:5]
	;; [unrolled: 1-line block ×3, first 2 shown]
	v_fma_f64 v[8:9], v[12:13], v[152:153], v[8:9]
	v_fma_f64 v[10:11], v[245:246], v[20:21], v[10:11]
	;; [unrolled: 1-line block ×4, first 2 shown]
	v_add_f64 v[14:15], v[0:1], -v[2:3]
	v_add_f64 v[6:7], v[2:3], v[4:5]
	v_add_f64 v[26:27], v[0:1], v[18:19]
	v_add_f64 v[20:21], v[18:19], -v[4:5]
	v_add_f64 v[22:23], v[8:9], -v[10:11]
	;; [unrolled: 1-line block ×6, first 2 shown]
	v_fma_f64 v[6:7], v[6:7], -0.5, v[150:151]
	v_fma_f64 v[2:3], v[26:27], -0.5, v[150:151]
	v_add_f64 v[46:47], v[148:149], v[12:13]
	v_add_f64 v[14:15], v[14:15], v[20:21]
	v_add_f64 v[34:35], v[8:9], -v[12:13]
	v_add_f64 v[26:27], v[12:13], v[16:17]
	v_add_f64 v[44:45], v[8:9], v[10:11]
	v_add_f64 v[12:13], v[12:13], -v[8:9]
	v_fma_f64 v[40:41], v[22:23], s[20:21], v[6:7]
	v_fma_f64 v[6:7], v[22:23], s[8:9], v[6:7]
	;; [unrolled: 1-line block ×4, first 2 shown]
	v_add_f64 v[8:9], v[46:47], v[8:9]
	v_add_f64 v[36:37], v[10:11], -v[16:17]
	v_add_f64 v[42:43], v[0:1], -v[18:19]
	v_fma_f64 v[26:27], v[26:27], -0.5, v[148:149]
	v_fma_f64 v[40:41], v[24:25], s[16:17], v[40:41]
	v_fma_f64 v[6:7], v[24:25], s[18:19], v[6:7]
	v_add_f64 v[24:25], v[28:29], v[30:31]
	v_fma_f64 v[20:21], v[22:23], s[16:17], v[20:21]
	v_fma_f64 v[22:23], v[22:23], s[18:19], v[2:3]
	v_add_f64 v[8:9], v[8:9], v[10:11]
	v_fma_f64 v[28:29], v[44:45], -0.5, v[148:149]
	v_add_f64 v[0:1], v[32:33], v[0:1]
	v_fma_f64 v[2:3], v[14:15], s[10:11], v[40:41]
	v_fma_f64 v[6:7], v[14:15], s[10:11], v[6:7]
	v_add_f64 v[14:15], v[16:17], -v[10:11]
	v_fma_f64 v[10:11], v[24:25], s[10:11], v[20:21]
	buffer_load_dword v20, off, s[52:55], 0 offset:36 ; 4-byte Folded Reload
	v_fma_f64 v[32:33], v[42:43], s[20:21], v[26:27]
	v_fma_f64 v[30:31], v[38:39], s[8:9], v[28:29]
	;; [unrolled: 1-line block ×4, first 2 shown]
	v_add_f64 v[0:1], v[0:1], v[18:19]
	v_add_f64 v[34:35], v[34:35], v[36:37]
	;; [unrolled: 1-line block ×4, first 2 shown]
	v_fma_f64 v[14:15], v[24:25], s[10:11], v[22:23]
	v_fma_f64 v[12:13], v[42:43], s[16:17], v[30:31]
	;; [unrolled: 1-line block ×5, first 2 shown]
	v_add_f64 v[18:19], v[0:1], v[4:5]
	v_fma_f64 v[12:13], v[36:37], s[10:11], v[12:13]
	v_fma_f64 v[4:5], v[34:35], s[10:11], v[30:31]
	;; [unrolled: 1-line block ×4, first 2 shown]
	s_waitcnt vmcnt(0)
	v_and_b32_e32 v20, 0xff, v20
	v_lshl_add_u32 v20, v20, 4, v215
	ds_write_b128 v20, v[16:19] offset:10400
	ds_write_b128 v20, v[12:15] offset:10608
	;; [unrolled: 1-line block ×5, first 2 shown]
.LBB0_21:
	s_or_b64 exec, exec, s[22:23]
	s_waitcnt lgkmcnt(0)
	s_barrier
	ds_read_b128 v[0:3], v255 offset:1040
	ds_read_b128 v[8:11], v255 offset:3120
	;; [unrolled: 1-line block ×3, first 2 shown]
	s_mov_b32 s16, 0xf8bb580b
	s_mov_b32 s17, 0xbfe14ced
	s_waitcnt lgkmcnt(2)
	v_mul_f64 v[12:13], v[86:87], v[2:3]
	v_mul_f64 v[14:15], v[86:87], v[0:1]
	s_waitcnt lgkmcnt(1)
	v_mul_f64 v[20:21], v[62:63], v[10:11]
	v_mul_f64 v[22:23], v[62:63], v[8:9]
	s_mov_b32 s10, 0x8764f0ba
	s_mov_b32 s2, 0x8eee2c13
	;; [unrolled: 1-line block ×4, first 2 shown]
	v_fma_f64 v[28:29], v[84:85], v[0:1], v[12:13]
	v_fma_f64 v[30:31], v[84:85], v[2:3], -v[14:15]
	ds_read_b128 v[12:15], v255
	s_waitcnt lgkmcnt(1)
	v_mul_f64 v[16:17], v[78:79], v[6:7]
	v_mul_f64 v[18:19], v[78:79], v[4:5]
	ds_read_b128 v[0:3], v255 offset:4160
	v_fma_f64 v[36:37], v[60:61], v[8:9], v[20:21]
	v_fma_f64 v[38:39], v[60:61], v[10:11], -v[22:23]
	s_mov_b32 s24, 0x640f44db
	s_mov_b32 s28, 0xbb3a28a1
	;; [unrolled: 1-line block ×3, first 2 shown]
	v_fma_f64 v[32:33], v[76:77], v[4:5], v[16:17]
	v_fma_f64 v[34:35], v[76:77], v[6:7], -v[18:19]
	ds_read_b128 v[4:7], v255 offset:5200
	s_waitcnt lgkmcnt(2)
	v_add_f64 v[16:17], v[12:13], v[28:29]
	v_add_f64 v[18:19], v[14:15], v[30:31]
	s_waitcnt lgkmcnt(1)
	v_mul_f64 v[24:25], v[54:55], v[2:3]
	v_mul_f64 v[26:27], v[54:55], v[0:1]
	s_waitcnt lgkmcnt(0)
	v_mul_f64 v[40:41], v[82:83], v[6:7]
	v_mul_f64 v[42:43], v[82:83], v[4:5]
	s_mov_b32 s36, 0xfd768dbf
	s_mov_b32 s38, 0x9bcd5057
	v_add_f64 v[20:21], v[16:17], v[32:33]
	v_add_f64 v[22:23], v[18:19], v[34:35]
	v_fma_f64 v[44:45], v[52:53], v[0:1], v[24:25]
	v_fma_f64 v[46:47], v[52:53], v[2:3], -v[26:27]
	ds_read_b128 v[8:11], v255 offset:6240
	ds_read_b128 v[16:19], v255 offset:7280
	v_fma_f64 v[4:5], v[80:81], v[4:5], v[40:41]
	v_fma_f64 v[6:7], v[80:81], v[6:7], -v[42:43]
	s_mov_b32 s11, 0x3feaeb8c
	v_add_f64 v[52:53], v[20:21], v[36:37]
	v_add_f64 v[54:55], v[22:23], v[38:39]
	s_waitcnt lgkmcnt(1)
	v_mul_f64 v[60:61], v[66:67], v[10:11]
	v_mul_f64 v[62:63], v[66:67], v[8:9]
	ds_read_b128 v[0:3], v255 offset:8320
	ds_read_b128 v[20:23], v255 offset:9360
	;; [unrolled: 1-line block ×3, first 2 shown]
	s_mov_b32 s3, 0xbfed1bb4
	s_mov_b32 s9, 0x3fda9628
	;; [unrolled: 1-line block ×3, first 2 shown]
	v_add_f64 v[40:41], v[52:53], v[44:45]
	v_add_f64 v[42:43], v[54:55], v[46:47]
	s_waitcnt lgkmcnt(3)
	v_mul_f64 v[52:53], v[58:59], v[18:19]
	v_mul_f64 v[54:55], v[58:59], v[16:17]
	v_fma_f64 v[8:9], v[64:65], v[8:9], v[60:61]
	v_fma_f64 v[10:11], v[64:65], v[10:11], -v[62:63]
	s_waitcnt lgkmcnt(0)
	v_mul_f64 v[58:59], v[74:75], v[24:25]
	v_mul_f64 v[60:61], v[50:51], v[2:3]
	v_add_f64 v[40:41], v[40:41], v[4:5]
	v_add_f64 v[42:43], v[42:43], v[6:7]
	v_mul_f64 v[50:51], v[50:51], v[0:1]
	v_fma_f64 v[16:17], v[56:57], v[16:17], v[52:53]
	v_fma_f64 v[18:19], v[56:57], v[18:19], -v[54:55]
	v_mul_f64 v[52:53], v[74:75], v[26:27]
	v_fma_f64 v[26:27], v[72:73], v[26:27], -v[58:59]
	v_mul_f64 v[54:55], v[70:71], v[22:23]
	v_add_f64 v[40:41], v[40:41], v[8:9]
	v_add_f64 v[42:43], v[42:43], v[10:11]
	v_mul_f64 v[56:57], v[70:71], v[20:21]
	v_fma_f64 v[58:59], v[48:49], v[0:1], v[60:61]
	v_fma_f64 v[48:49], v[48:49], v[2:3], -v[50:51]
	v_fma_f64 v[24:25], v[72:73], v[24:25], v[52:53]
	s_mov_b32 s25, 0xbfc2375f
	v_fma_f64 v[20:21], v[68:69], v[20:21], v[54:55]
	v_add_f64 v[0:1], v[40:41], v[16:17]
	v_add_f64 v[2:3], v[42:43], v[18:19]
	v_add_f64 v[40:41], v[30:31], -v[26:27]
	v_fma_f64 v[22:23], v[68:69], v[22:23], -v[56:57]
	v_add_f64 v[30:31], v[30:31], v[26:27]
	v_add_f64 v[42:43], v[28:29], v[24:25]
	s_mov_b32 s29, 0xbfe82f19
	s_mov_b32 s31, 0xbfe4f49e
	v_add_f64 v[0:1], v[0:1], v[58:59]
	v_add_f64 v[2:3], v[2:3], v[48:49]
	v_mul_f64 v[50:51], v[40:41], s[16:17]
	s_mov_b32 s37, 0xbfd207e7
	s_mov_b32 s39, 0xbfeeb42a
	v_add_f64 v[28:29], v[28:29], -v[24:25]
	v_mul_f64 v[52:53], v[30:31], s[10:11]
	v_mul_f64 v[56:57], v[40:41], s[2:3]
	v_add_f64 v[0:1], v[0:1], v[20:21]
	v_add_f64 v[2:3], v[2:3], v[22:23]
	v_fma_f64 v[54:55], v[42:43], s[10:11], v[50:51]
	v_mul_f64 v[60:61], v[30:31], s[8:9]
	v_mul_f64 v[64:65], v[40:41], s[20:21]
	;; [unrolled: 1-line block ×7, first 2 shown]
	v_add_f64 v[80:81], v[34:35], -v[22:23]
	v_add_f64 v[22:23], v[34:35], v[22:23]
	s_mov_b32 s23, 0x3fe14ced
	s_mov_b32 s22, s16
	;; [unrolled: 1-line block ×10, first 2 shown]
	v_fma_f64 v[62:63], v[28:29], s[22:23], v[52:53]
	v_add_f64 v[0:1], v[0:1], v[24:25]
	v_add_f64 v[2:3], v[2:3], v[26:27]
	v_fma_f64 v[24:25], v[42:43], s[10:11], -v[50:51]
	v_add_f64 v[26:27], v[12:13], v[54:55]
	v_fma_f64 v[50:51], v[28:29], s[16:17], v[52:53]
	v_fma_f64 v[54:55], v[28:29], s[18:19], v[60:61]
	;; [unrolled: 1-line block ×9, first 2 shown]
	v_add_f64 v[84:85], v[32:33], v[20:21]
	v_add_f64 v[20:21], v[32:33], -v[20:21]
	v_mul_f64 v[32:33], v[80:81], s[2:3]
	v_mul_f64 v[86:87], v[22:23], s[8:9]
	v_fma_f64 v[28:29], v[28:29], s[36:37], v[30:31]
	v_fma_f64 v[52:53], v[42:43], s[8:9], v[56:57]
	v_add_f64 v[62:63], v[14:15], v[62:63]
	v_add_f64 v[24:25], v[12:13], v[24:25]
	;; [unrolled: 1-line block ×4, first 2 shown]
	v_fma_f64 v[56:57], v[42:43], s[8:9], -v[56:57]
	v_fma_f64 v[66:67], v[42:43], s[24:25], v[64:65]
	v_fma_f64 v[64:65], v[42:43], s[24:25], -v[64:65]
	v_fma_f64 v[76:77], v[42:43], s[30:31], v[70:71]
	v_add_f64 v[60:61], v[14:15], v[60:61]
	v_add_f64 v[74:75], v[14:15], v[74:75]
	;; [unrolled: 1-line block ×4, first 2 shown]
	v_fma_f64 v[70:71], v[42:43], s[30:31], -v[70:71]
	v_add_f64 v[72:73], v[14:15], v[72:73]
	v_fma_f64 v[40:41], v[42:43], s[38:39], -v[40:41]
	v_add_f64 v[30:31], v[12:13], v[34:35]
	v_add_f64 v[34:35], v[14:15], v[82:83]
	v_mul_f64 v[42:43], v[80:81], s[28:29]
	v_mul_f64 v[82:83], v[22:23], s[30:31]
	v_fma_f64 v[88:89], v[84:85], s[8:9], v[32:33]
	v_fma_f64 v[90:91], v[20:21], s[18:19], v[86:87]
	v_add_f64 v[14:15], v[14:15], v[28:29]
	v_fma_f64 v[28:29], v[84:85], s[8:9], -v[32:33]
	v_fma_f64 v[32:33], v[20:21], s[2:3], v[86:87]
	v_add_f64 v[52:53], v[12:13], v[52:53]
	v_add_f64 v[56:57], v[12:13], v[56:57]
	;; [unrolled: 1-line block ×7, first 2 shown]
	v_fma_f64 v[40:41], v[84:85], s[30:31], v[42:43]
	v_fma_f64 v[86:87], v[20:21], s[34:35], v[82:83]
	v_add_f64 v[26:27], v[88:89], v[26:27]
	v_add_f64 v[62:63], v[90:91], v[62:63]
	v_mul_f64 v[88:89], v[80:81], s[40:41]
	v_mul_f64 v[90:91], v[22:23], s[38:39]
	v_add_f64 v[24:25], v[28:29], v[24:25]
	v_add_f64 v[28:29], v[32:33], v[50:51]
	v_fma_f64 v[42:43], v[84:85], s[30:31], -v[42:43]
	v_fma_f64 v[50:51], v[20:21], s[28:29], v[82:83]
	v_mul_f64 v[82:83], v[80:81], s[26:27]
	v_add_f64 v[32:33], v[40:41], v[52:53]
	v_add_f64 v[40:41], v[86:87], v[54:55]
	v_fma_f64 v[52:53], v[84:85], s[38:39], v[88:89]
	v_fma_f64 v[54:55], v[20:21], s[36:37], v[90:91]
	v_mul_f64 v[86:87], v[22:23], s[24:25]
	v_fma_f64 v[90:91], v[20:21], s[40:41], v[90:91]
	v_add_f64 v[42:43], v[42:43], v[56:57]
	v_fma_f64 v[56:57], v[84:85], s[24:25], v[82:83]
	v_mul_f64 v[80:81], v[80:81], s[22:23]
	v_mul_f64 v[22:23], v[22:23], s[10:11]
	v_add_f64 v[52:53], v[52:53], v[66:67]
	v_add_f64 v[54:55], v[54:55], v[74:75]
	v_fma_f64 v[74:75], v[20:21], s[26:27], v[86:87]
	v_add_f64 v[66:67], v[90:91], v[68:69]
	v_fma_f64 v[68:69], v[84:85], s[24:25], -v[82:83]
	v_add_f64 v[56:57], v[56:57], v[76:77]
	v_add_f64 v[76:77], v[38:39], -v[48:49]
	v_add_f64 v[50:51], v[50:51], v[60:61]
	v_fma_f64 v[60:61], v[20:21], s[20:21], v[86:87]
	v_add_f64 v[38:39], v[38:39], v[48:49]
	v_fma_f64 v[88:89], v[84:85], s[38:39], -v[88:89]
	v_add_f64 v[48:49], v[68:69], v[70:71]
	v_add_f64 v[68:69], v[74:75], v[72:73]
	v_fma_f64 v[70:71], v[84:85], s[10:11], v[80:81]
	v_fma_f64 v[72:73], v[20:21], s[16:17], v[22:23]
	v_add_f64 v[74:75], v[36:37], v[58:59]
	v_add_f64 v[36:37], v[36:37], -v[58:59]
	v_mul_f64 v[58:59], v[76:77], s[20:21]
	v_add_f64 v[60:61], v[60:61], v[78:79]
	v_mul_f64 v[78:79], v[38:39], s[24:25]
	v_fma_f64 v[20:21], v[20:21], s[22:23], v[22:23]
	v_add_f64 v[22:23], v[70:71], v[30:31]
	v_add_f64 v[30:31], v[72:73], v[34:35]
	v_mul_f64 v[34:35], v[76:77], s[40:41]
	v_fma_f64 v[80:81], v[84:85], s[10:11], -v[80:81]
	v_fma_f64 v[72:73], v[74:75], s[24:25], v[58:59]
	v_mul_f64 v[70:71], v[38:39], s[38:39]
	v_fma_f64 v[82:83], v[36:37], s[26:27], v[78:79]
	v_add_f64 v[14:15], v[20:21], v[14:15]
	v_fma_f64 v[20:21], v[74:75], s[24:25], -v[58:59]
	v_fma_f64 v[58:59], v[36:37], s[20:21], v[78:79]
	v_fma_f64 v[78:79], v[74:75], s[38:39], v[34:35]
	v_add_f64 v[12:13], v[80:81], v[12:13]
	v_add_f64 v[26:27], v[72:73], v[26:27]
	v_mul_f64 v[72:73], v[76:77], s[18:19]
	v_fma_f64 v[80:81], v[36:37], s[36:37], v[70:71]
	v_add_f64 v[62:63], v[82:83], v[62:63]
	v_mul_f64 v[82:83], v[38:39], s[8:9]
	v_add_f64 v[20:21], v[20:21], v[24:25]
	v_add_f64 v[24:25], v[58:59], v[28:29]
	;; [unrolled: 1-line block ×3, first 2 shown]
	v_fma_f64 v[34:35], v[74:75], s[38:39], -v[34:35]
	v_fma_f64 v[58:59], v[74:75], s[8:9], v[72:73]
	v_mul_f64 v[78:79], v[76:77], s[16:17]
	v_add_f64 v[64:65], v[88:89], v[64:65]
	v_add_f64 v[32:33], v[80:81], v[40:41]
	v_fma_f64 v[40:41], v[36:37], s[40:41], v[70:71]
	v_fma_f64 v[70:71], v[36:37], s[2:3], v[82:83]
	v_fma_f64 v[72:73], v[74:75], s[8:9], -v[72:73]
	v_fma_f64 v[82:83], v[36:37], s[18:19], v[82:83]
	v_add_f64 v[34:35], v[34:35], v[42:43]
	v_add_f64 v[42:43], v[58:59], v[52:53]
	v_fma_f64 v[52:53], v[74:75], s[10:11], v[78:79]
	v_mul_f64 v[80:81], v[38:39], s[10:11]
	v_add_f64 v[40:41], v[40:41], v[50:51]
	v_add_f64 v[50:51], v[70:71], v[54:55]
	;; [unrolled: 1-line block ×4, first 2 shown]
	v_mul_f64 v[66:67], v[76:77], s[28:29]
	v_fma_f64 v[70:71], v[74:75], s[10:11], -v[78:79]
	v_add_f64 v[52:53], v[52:53], v[56:57]
	v_add_f64 v[56:57], v[46:47], -v[18:19]
	v_fma_f64 v[54:55], v[36:37], s[22:23], v[80:81]
	v_mul_f64 v[38:39], v[38:39], s[30:31]
	v_fma_f64 v[72:73], v[36:37], s[16:17], v[80:81]
	v_add_f64 v[18:19], v[46:47], v[18:19]
	v_fma_f64 v[46:47], v[74:75], s[30:31], v[66:67]
	v_add_f64 v[48:49], v[70:71], v[48:49]
	v_add_f64 v[70:71], v[44:45], v[16:17]
	v_add_f64 v[16:17], v[44:45], -v[16:17]
	v_mul_f64 v[44:45], v[56:57], s[28:29]
	v_add_f64 v[54:55], v[54:55], v[60:61]
	v_fma_f64 v[60:61], v[36:37], s[34:35], v[38:39]
	v_add_f64 v[68:69], v[72:73], v[68:69]
	v_mul_f64 v[72:73], v[18:19], s[30:31]
	v_add_f64 v[22:23], v[46:47], v[22:23]
	v_fma_f64 v[46:47], v[74:75], s[30:31], -v[66:67]
	v_fma_f64 v[36:37], v[36:37], s[28:29], v[38:39]
	v_fma_f64 v[66:67], v[70:71], s[30:31], v[44:45]
	v_fma_f64 v[44:45], v[70:71], s[30:31], -v[44:45]
	v_add_f64 v[30:31], v[60:61], v[30:31]
	v_mul_f64 v[38:39], v[56:57], s[26:27]
	v_mul_f64 v[60:61], v[18:19], s[24:25]
	v_fma_f64 v[74:75], v[16:17], s[34:35], v[72:73]
	v_fma_f64 v[72:73], v[16:17], s[28:29], v[72:73]
	v_add_f64 v[12:13], v[46:47], v[12:13]
	v_add_f64 v[14:15], v[36:37], v[14:15]
	;; [unrolled: 1-line block ×3, first 2 shown]
	v_mul_f64 v[44:45], v[56:57], s[16:17]
	v_fma_f64 v[36:37], v[70:71], s[24:25], v[38:39]
	v_fma_f64 v[46:47], v[16:17], s[20:21], v[60:61]
	v_add_f64 v[26:27], v[66:67], v[26:27]
	v_add_f64 v[24:25], v[72:73], v[24:25]
	v_mul_f64 v[66:67], v[18:19], s[10:11]
	v_fma_f64 v[38:39], v[70:71], s[24:25], -v[38:39]
	v_fma_f64 v[60:61], v[16:17], s[26:27], v[60:61]
	v_fma_f64 v[72:73], v[70:71], s[10:11], v[44:45]
	v_fma_f64 v[44:45], v[70:71], s[10:11], -v[44:45]
	v_add_f64 v[62:63], v[74:75], v[62:63]
	v_add_f64 v[28:29], v[36:37], v[28:29]
	;; [unrolled: 1-line block ×3, first 2 shown]
	v_mul_f64 v[36:37], v[56:57], s[36:37]
	v_mul_f64 v[46:47], v[18:19], s[38:39]
	v_fma_f64 v[74:75], v[16:17], s[22:23], v[66:67]
	v_fma_f64 v[66:67], v[16:17], s[16:17], v[66:67]
	v_add_f64 v[34:35], v[38:39], v[34:35]
	v_add_f64 v[38:39], v[60:61], v[40:41]
	;; [unrolled: 1-line block ×3, first 2 shown]
	v_add_f64 v[58:59], v[6:7], -v[10:11]
	v_add_f64 v[60:61], v[6:7], v[10:11]
	v_mul_f64 v[6:7], v[56:57], s[18:19]
	v_mul_f64 v[10:11], v[18:19], s[8:9]
	v_fma_f64 v[76:77], v[70:71], s[38:39], v[36:37]
	v_fma_f64 v[78:79], v[16:17], s[40:41], v[46:47]
	v_add_f64 v[40:41], v[72:73], v[42:43]
	v_add_f64 v[42:43], v[74:75], v[50:51]
	v_add_f64 v[50:51], v[66:67], v[64:65]
	v_fma_f64 v[18:19], v[70:71], s[38:39], -v[36:37]
	v_fma_f64 v[36:37], v[16:17], s[36:37], v[46:47]
	v_add_f64 v[46:47], v[4:5], v[8:9]
	v_add_f64 v[56:57], v[4:5], -v[8:9]
	v_mul_f64 v[8:9], v[58:59], s[36:37]
	v_fma_f64 v[4:5], v[70:71], s[8:9], v[6:7]
	v_fma_f64 v[66:67], v[16:17], s[2:3], v[10:11]
	v_mul_f64 v[64:65], v[60:61], s[38:39]
	v_fma_f64 v[6:7], v[70:71], s[8:9], -v[6:7]
	v_add_f64 v[68:69], v[36:37], v[68:69]
	v_fma_f64 v[10:11], v[16:17], s[18:19], v[10:11]
	v_add_f64 v[48:49], v[18:19], v[48:49]
	v_fma_f64 v[16:17], v[46:47], s[38:39], v[8:9]
	v_add_f64 v[36:37], v[4:5], v[22:23]
	v_add_f64 v[66:67], v[66:67], v[30:31]
	v_mul_f64 v[22:23], v[58:59], s[22:23]
	v_mul_f64 v[30:31], v[60:61], s[10:11]
	v_fma_f64 v[18:19], v[56:57], s[40:41], v[64:65]
	v_add_f64 v[70:71], v[6:7], v[12:13]
	v_add_f64 v[72:73], v[10:11], v[14:15]
	;; [unrolled: 1-line block ×3, first 2 shown]
	v_fma_f64 v[8:9], v[46:47], s[38:39], -v[8:9]
	v_fma_f64 v[10:11], v[56:57], s[36:37], v[64:65]
	v_fma_f64 v[12:13], v[46:47], s[10:11], v[22:23]
	;; [unrolled: 1-line block ×3, first 2 shown]
	v_mul_f64 v[26:27], v[58:59], s[28:29]
	v_fma_f64 v[16:17], v[46:47], s[10:11], -v[22:23]
	v_mul_f64 v[22:23], v[60:61], s[30:31]
	v_add_f64 v[6:7], v[18:19], v[62:63]
	v_fma_f64 v[18:19], v[56:57], s[22:23], v[30:31]
	v_add_f64 v[8:9], v[8:9], v[20:21]
	v_add_f64 v[10:11], v[10:11], v[24:25]
	;; [unrolled: 1-line block ×4, first 2 shown]
	v_fma_f64 v[20:21], v[46:47], s[30:31], v[26:27]
	v_fma_f64 v[24:25], v[56:57], s[34:35], v[22:23]
	v_fma_f64 v[26:27], v[46:47], s[30:31], -v[26:27]
	v_fma_f64 v[28:29], v[56:57], s[28:29], v[22:23]
	v_mul_f64 v[30:31], v[58:59], s[18:19]
	v_mul_f64 v[32:33], v[60:61], s[8:9]
	v_add_f64 v[16:17], v[16:17], v[34:35]
	v_add_f64 v[18:19], v[18:19], v[38:39]
	v_mul_f64 v[34:35], v[58:59], s[20:21]
	v_mul_f64 v[38:39], v[60:61], s[24:25]
	v_add_f64 v[52:53], v[76:77], v[52:53]
	v_add_f64 v[54:55], v[78:79], v[54:55]
	;; [unrolled: 1-line block ×6, first 2 shown]
	v_fma_f64 v[28:29], v[46:47], s[8:9], v[30:31]
	v_fma_f64 v[40:41], v[56:57], s[2:3], v[32:33]
	;; [unrolled: 1-line block ×4, first 2 shown]
	v_fma_f64 v[42:43], v[46:47], s[8:9], -v[30:31]
	v_fma_f64 v[34:35], v[46:47], s[24:25], -v[34:35]
	v_fma_f64 v[46:47], v[56:57], s[20:21], v[38:39]
	v_fma_f64 v[56:57], v[56:57], s[18:19], v[32:33]
	v_add_f64 v[28:29], v[28:29], v[52:53]
	v_add_f64 v[30:31], v[40:41], v[54:55]
	;; [unrolled: 1-line block ×8, first 2 shown]
	ds_write_b128 v199, v[0:3]
	ds_write_b128 v199, v[4:7] offset:1040
	ds_write_b128 v199, v[12:15] offset:2080
	;; [unrolled: 1-line block ×10, first 2 shown]
	s_waitcnt lgkmcnt(0)
	s_barrier
	s_and_b64 exec, exec, s[0:1]
	s_cbranch_execz .LBB0_23
; %bb.22:
	global_load_dwordx4 v[0:3], v212, s[14:15]
	global_load_dwordx4 v[4:7], v212, s[14:15] offset:880
	global_load_dwordx4 v[8:11], v212, s[14:15] offset:1760
	;; [unrolled: 1-line block ×4, first 2 shown]
	v_mad_u64_u32 v[72:73], s[0:1], s6, v213, 0
	v_mov_b32_e32 v20, s15
	v_add_co_u32_e32 v52, vcc, s14, v212
	s_movk_i32 s0, 0x1000
	v_addc_co_u32_e32 v53, vcc, 0, v20, vcc
	v_add_co_u32_e32 v74, vcc, s0, v52
	v_addc_co_u32_e32 v75, vcc, 0, v53, vcc
	global_load_dwordx4 v[20:23], v[74:75], off offset:304
	ds_read_b128 v[24:27], v199
	ds_read_b128 v[28:31], v199 offset:880
	ds_read_b128 v[32:35], v199 offset:1760
	;; [unrolled: 1-line block ×5, first 2 shown]
	global_load_dwordx4 v[48:51], v[74:75], off offset:1184
	v_mad_u64_u32 v[76:77], s[2:3], s4, v211, 0
	s_mul_hi_u32 s6, s4, 0x370
	s_mul_i32 s2, s4, 0x370
	s_movk_i32 s4, 0x2000
	v_add_co_u32_e32 v78, vcc, s4, v52
	v_addc_co_u32_e32 v79, vcc, 0, v53, vcc
	global_load_dwordx4 v[52:55], v[74:75], off offset:2064
	global_load_dwordx4 v[56:59], v[74:75], off offset:2944
	s_mul_i32 s3, s5, 0x370
	v_mov_b32_e32 v60, v73
	v_mov_b32_e32 v61, v77
	s_add_i32 s3, s6, s3
	v_mad_u64_u32 v[80:81], s[6:7], s7, v213, v[60:61]
	v_mad_u64_u32 v[81:82], s[4:5], s5, v211, v[61:62]
	global_load_dwordx4 v[60:63], v[74:75], off offset:3824
	global_load_dwordx4 v[64:67], v[78:79], off offset:608
	;; [unrolled: 1-line block ×3, first 2 shown]
	v_mov_b32_e32 v73, v80
	v_lshlrev_b64 v[72:73], 4, v[72:73]
	v_mov_b32_e32 v77, v81
	v_mov_b32_e32 v83, s13
	v_lshlrev_b64 v[74:75], 4, v[76:77]
	v_add_co_u32_e32 v72, vcc, s12, v72
	v_addc_co_u32_e32 v73, vcc, v83, v73, vcc
	v_add_co_u32_e32 v72, vcc, v72, v74
	v_addc_co_u32_e32 v73, vcc, v73, v75, vcc
	v_mov_b32_e32 v84, s3
	v_add_co_u32_e32 v74, vcc, s2, v72
	v_addc_co_u32_e32 v75, vcc, v73, v84, vcc
	v_mov_b32_e32 v85, s3
	v_add_co_u32_e32 v76, vcc, s2, v74
	v_addc_co_u32_e32 v77, vcc, v75, v85, vcc
	s_mov_b32 s0, 0xd118b474
	s_mov_b32 s1, 0x3f56ea28
	v_mov_b32_e32 v90, s3
	s_waitcnt vmcnt(11) lgkmcnt(5)
	v_mul_f64 v[80:81], v[26:27], v[2:3]
	v_mul_f64 v[2:3], v[24:25], v[2:3]
	s_waitcnt vmcnt(10) lgkmcnt(4)
	v_mul_f64 v[82:83], v[30:31], v[6:7]
	v_mul_f64 v[6:7], v[28:29], v[6:7]
	;; [unrolled: 3-line block ×4, first 2 shown]
	v_fma_f64 v[24:25], v[24:25], v[0:1], v[80:81]
	v_fma_f64 v[2:3], v[0:1], v[26:27], -v[2:3]
	v_fma_f64 v[26:27], v[28:29], v[4:5], v[82:83]
	v_fma_f64 v[6:7], v[4:5], v[30:31], -v[6:7]
	;; [unrolled: 2-line block ×3, first 2 shown]
	s_waitcnt vmcnt(7) lgkmcnt(1)
	v_mul_f64 v[88:89], v[42:43], v[18:19]
	v_mul_f64 v[18:19], v[40:41], v[18:19]
	v_fma_f64 v[30:31], v[36:37], v[12:13], v[86:87]
	v_fma_f64 v[14:15], v[12:13], v[38:39], -v[14:15]
	v_mul_f64 v[0:1], v[24:25], s[0:1]
	v_mul_f64 v[2:3], v[2:3], s[0:1]
	;; [unrolled: 1-line block ×6, first 2 shown]
	s_waitcnt vmcnt(6) lgkmcnt(0)
	v_mul_f64 v[24:25], v[46:47], v[22:23]
	v_fma_f64 v[26:27], v[40:41], v[16:17], v[88:89]
	v_fma_f64 v[16:17], v[16:17], v[42:43], -v[18:19]
	v_mul_f64 v[12:13], v[30:31], s[0:1]
	v_mul_f64 v[14:15], v[14:15], s[0:1]
	global_store_dwordx4 v[72:73], v[0:3], off
	global_store_dwordx4 v[74:75], v[4:7], off
	;; [unrolled: 1-line block ×3, first 2 shown]
	ds_read_b128 v[4:7], v199 offset:5280
	v_mul_f64 v[8:9], v[44:45], v[22:23]
	v_add_co_u32_e32 v18, vcc, s2, v76
	v_addc_co_u32_e32 v19, vcc, v77, v90, vcc
	global_store_dwordx4 v[18:19], v[12:15], off
	v_mul_f64 v[0:1], v[26:27], s[0:1]
	v_mul_f64 v[2:3], v[16:17], s[0:1]
	v_fma_f64 v[12:13], v[44:45], v[20:21], v[24:25]
	v_fma_f64 v[14:15], v[20:21], v[46:47], -v[8:9]
	ds_read_b128 v[8:11], v199 offset:6160
	s_waitcnt vmcnt(9) lgkmcnt(1)
	v_mul_f64 v[16:17], v[6:7], v[50:51]
	v_mul_f64 v[20:21], v[4:5], v[50:51]
	v_mov_b32_e32 v22, s3
	v_add_co_u32_e32 v18, vcc, s2, v18
	v_addc_co_u32_e32 v19, vcc, v19, v22, vcc
	global_store_dwordx4 v[18:19], v[0:3], off
	v_fma_f64 v[4:5], v[4:5], v[48:49], v[16:17]
	v_mul_f64 v[0:1], v[12:13], s[0:1]
	v_mul_f64 v[2:3], v[14:15], s[0:1]
	v_fma_f64 v[6:7], v[48:49], v[6:7], -v[20:21]
	s_waitcnt vmcnt(9) lgkmcnt(0)
	v_mul_f64 v[12:13], v[10:11], v[54:55]
	v_mul_f64 v[14:15], v[8:9], v[54:55]
	v_add_co_u32_e32 v16, vcc, s2, v18
	v_addc_co_u32_e32 v17, vcc, v19, v22, vcc
	global_store_dwordx4 v[16:17], v[0:3], off
	v_add_co_u32_e32 v16, vcc, s2, v16
	v_mul_f64 v[0:1], v[4:5], s[0:1]
	v_mul_f64 v[2:3], v[6:7], s[0:1]
	ds_read_b128 v[4:7], v199 offset:7040
	v_fma_f64 v[12:13], v[8:9], v[52:53], v[12:13]
	v_fma_f64 v[14:15], v[52:53], v[10:11], -v[14:15]
	ds_read_b128 v[8:11], v199 offset:7920
	v_addc_co_u32_e32 v17, vcc, v17, v22, vcc
	s_waitcnt vmcnt(9) lgkmcnt(1)
	v_mul_f64 v[18:19], v[6:7], v[58:59]
	v_mul_f64 v[20:21], v[4:5], v[58:59]
	global_store_dwordx4 v[16:17], v[0:3], off
	v_add_co_u32_e32 v16, vcc, s2, v16
	v_mul_f64 v[0:1], v[12:13], s[0:1]
	v_mul_f64 v[2:3], v[14:15], s[0:1]
	s_waitcnt vmcnt(9) lgkmcnt(0)
	v_mul_f64 v[12:13], v[10:11], v[62:63]
	v_fma_f64 v[4:5], v[4:5], v[56:57], v[18:19]
	v_fma_f64 v[6:7], v[56:57], v[6:7], -v[20:21]
	v_mul_f64 v[14:15], v[8:9], v[62:63]
	v_addc_co_u32_e32 v17, vcc, v17, v22, vcc
	v_mov_b32_e32 v18, s3
	global_store_dwordx4 v[16:17], v[0:3], off
	v_fma_f64 v[12:13], v[8:9], v[60:61], v[12:13]
	v_mul_f64 v[0:1], v[4:5], s[0:1]
	v_mul_f64 v[2:3], v[6:7], s[0:1]
	v_fma_f64 v[14:15], v[60:61], v[10:11], -v[14:15]
	ds_read_b128 v[4:7], v199 offset:8800
	ds_read_b128 v[8:11], v199 offset:9680
	v_add_co_u32_e32 v16, vcc, s2, v16
	v_addc_co_u32_e32 v17, vcc, v17, v18, vcc
	s_waitcnt vmcnt(9) lgkmcnt(1)
	v_mul_f64 v[18:19], v[6:7], v[66:67]
	v_mul_f64 v[20:21], v[4:5], v[66:67]
	s_waitcnt vmcnt(8) lgkmcnt(0)
	v_mul_f64 v[22:23], v[10:11], v[70:71]
	v_mul_f64 v[24:25], v[8:9], v[70:71]
	global_store_dwordx4 v[16:17], v[0:3], off
	v_fma_f64 v[4:5], v[4:5], v[64:65], v[18:19]
	v_mul_f64 v[0:1], v[12:13], s[0:1]
	v_mul_f64 v[2:3], v[14:15], s[0:1]
	v_fma_f64 v[6:7], v[64:65], v[6:7], -v[20:21]
	v_fma_f64 v[8:9], v[8:9], v[68:69], v[22:23]
	v_fma_f64 v[10:11], v[68:69], v[10:11], -v[24:25]
	v_mov_b32_e32 v13, s3
	v_add_co_u32_e32 v12, vcc, s2, v16
	v_addc_co_u32_e32 v13, vcc, v17, v13, vcc
	global_store_dwordx4 v[12:13], v[0:3], off
	v_mov_b32_e32 v14, s3
	v_mul_f64 v[0:1], v[4:5], s[0:1]
	v_mul_f64 v[2:3], v[6:7], s[0:1]
	;; [unrolled: 1-line block ×4, first 2 shown]
	v_add_co_u32_e32 v8, vcc, s2, v12
	v_addc_co_u32_e32 v9, vcc, v13, v14, vcc
	global_store_dwordx4 v[8:9], v[0:3], off
	s_nop 0
	v_mov_b32_e32 v0, s3
	v_add_co_u32_e32 v8, vcc, s2, v8
	v_addc_co_u32_e32 v9, vcc, v9, v0, vcc
	global_store_dwordx4 v[8:9], v[4:7], off
	global_load_dwordx4 v[0:3], v[78:79], off offset:2368
	ds_read_b128 v[4:7], v199 offset:10560
	s_waitcnt vmcnt(0) lgkmcnt(0)
	v_mul_f64 v[10:11], v[6:7], v[2:3]
	v_mul_f64 v[2:3], v[4:5], v[2:3]
	v_fma_f64 v[4:5], v[4:5], v[0:1], v[10:11]
	v_fma_f64 v[2:3], v[0:1], v[6:7], -v[2:3]
	v_mul_f64 v[0:1], v[4:5], s[0:1]
	v_mul_f64 v[2:3], v[2:3], s[0:1]
	v_mov_b32_e32 v5, s3
	v_add_co_u32_e32 v4, vcc, s2, v8
	v_addc_co_u32_e32 v5, vcc, v9, v5, vcc
	global_store_dwordx4 v[4:5], v[0:3], off
.LBB0_23:
	s_endpgm
	.section	.rodata,"a",@progbits
	.p2align	6, 0x0
	.amdhsa_kernel bluestein_single_fwd_len715_dim1_dp_op_CI_CI
		.amdhsa_group_segment_fixed_size 34320
		.amdhsa_private_segment_fixed_size 396
		.amdhsa_kernarg_size 104
		.amdhsa_user_sgpr_count 6
		.amdhsa_user_sgpr_private_segment_buffer 1
		.amdhsa_user_sgpr_dispatch_ptr 0
		.amdhsa_user_sgpr_queue_ptr 0
		.amdhsa_user_sgpr_kernarg_segment_ptr 1
		.amdhsa_user_sgpr_dispatch_id 0
		.amdhsa_user_sgpr_flat_scratch_init 0
		.amdhsa_user_sgpr_private_segment_size 0
		.amdhsa_uses_dynamic_stack 0
		.amdhsa_system_sgpr_private_segment_wavefront_offset 1
		.amdhsa_system_sgpr_workgroup_id_x 1
		.amdhsa_system_sgpr_workgroup_id_y 0
		.amdhsa_system_sgpr_workgroup_id_z 0
		.amdhsa_system_sgpr_workgroup_info 0
		.amdhsa_system_vgpr_workitem_id 0
		.amdhsa_next_free_vgpr 256
		.amdhsa_next_free_sgpr 56
		.amdhsa_reserve_vcc 1
		.amdhsa_reserve_flat_scratch 0
		.amdhsa_float_round_mode_32 0
		.amdhsa_float_round_mode_16_64 0
		.amdhsa_float_denorm_mode_32 3
		.amdhsa_float_denorm_mode_16_64 3
		.amdhsa_dx10_clamp 1
		.amdhsa_ieee_mode 1
		.amdhsa_fp16_overflow 0
		.amdhsa_exception_fp_ieee_invalid_op 0
		.amdhsa_exception_fp_denorm_src 0
		.amdhsa_exception_fp_ieee_div_zero 0
		.amdhsa_exception_fp_ieee_overflow 0
		.amdhsa_exception_fp_ieee_underflow 0
		.amdhsa_exception_fp_ieee_inexact 0
		.amdhsa_exception_int_div_zero 0
	.end_amdhsa_kernel
	.text
.Lfunc_end0:
	.size	bluestein_single_fwd_len715_dim1_dp_op_CI_CI, .Lfunc_end0-bluestein_single_fwd_len715_dim1_dp_op_CI_CI
                                        ; -- End function
	.section	.AMDGPU.csdata,"",@progbits
; Kernel info:
; codeLenInByte = 24644
; NumSgprs: 60
; NumVgprs: 256
; ScratchSize: 396
; MemoryBound: 0
; FloatMode: 240
; IeeeMode: 1
; LDSByteSize: 34320 bytes/workgroup (compile time only)
; SGPRBlocks: 7
; VGPRBlocks: 63
; NumSGPRsForWavesPerEU: 60
; NumVGPRsForWavesPerEU: 256
; Occupancy: 1
; WaveLimiterHint : 1
; COMPUTE_PGM_RSRC2:SCRATCH_EN: 1
; COMPUTE_PGM_RSRC2:USER_SGPR: 6
; COMPUTE_PGM_RSRC2:TRAP_HANDLER: 0
; COMPUTE_PGM_RSRC2:TGID_X_EN: 1
; COMPUTE_PGM_RSRC2:TGID_Y_EN: 0
; COMPUTE_PGM_RSRC2:TGID_Z_EN: 0
; COMPUTE_PGM_RSRC2:TIDIG_COMP_CNT: 0
	.type	__hip_cuid_e34774a01a36c1f0,@object ; @__hip_cuid_e34774a01a36c1f0
	.section	.bss,"aw",@nobits
	.globl	__hip_cuid_e34774a01a36c1f0
__hip_cuid_e34774a01a36c1f0:
	.byte	0                               ; 0x0
	.size	__hip_cuid_e34774a01a36c1f0, 1

	.ident	"AMD clang version 19.0.0git (https://github.com/RadeonOpenCompute/llvm-project roc-6.4.0 25133 c7fe45cf4b819c5991fe208aaa96edf142730f1d)"
	.section	".note.GNU-stack","",@progbits
	.addrsig
	.addrsig_sym __hip_cuid_e34774a01a36c1f0
	.amdgpu_metadata
---
amdhsa.kernels:
  - .args:
      - .actual_access:  read_only
        .address_space:  global
        .offset:         0
        .size:           8
        .value_kind:     global_buffer
      - .actual_access:  read_only
        .address_space:  global
        .offset:         8
        .size:           8
        .value_kind:     global_buffer
      - .actual_access:  read_only
        .address_space:  global
        .offset:         16
        .size:           8
        .value_kind:     global_buffer
      - .actual_access:  read_only
        .address_space:  global
        .offset:         24
        .size:           8
        .value_kind:     global_buffer
      - .actual_access:  read_only
        .address_space:  global
        .offset:         32
        .size:           8
        .value_kind:     global_buffer
      - .offset:         40
        .size:           8
        .value_kind:     by_value
      - .address_space:  global
        .offset:         48
        .size:           8
        .value_kind:     global_buffer
      - .address_space:  global
        .offset:         56
        .size:           8
        .value_kind:     global_buffer
      - .address_space:  global
        .offset:         64
        .size:           8
        .value_kind:     global_buffer
      - .address_space:  global
        .offset:         72
        .size:           8
        .value_kind:     global_buffer
      - .offset:         80
        .size:           4
        .value_kind:     by_value
      - .address_space:  global
        .offset:         88
        .size:           8
        .value_kind:     global_buffer
      - .address_space:  global
        .offset:         96
        .size:           8
        .value_kind:     global_buffer
    .group_segment_fixed_size: 34320
    .kernarg_segment_align: 8
    .kernarg_segment_size: 104
    .language:       OpenCL C
    .language_version:
      - 2
      - 0
    .max_flat_workgroup_size: 195
    .name:           bluestein_single_fwd_len715_dim1_dp_op_CI_CI
    .private_segment_fixed_size: 396
    .sgpr_count:     60
    .sgpr_spill_count: 0
    .symbol:         bluestein_single_fwd_len715_dim1_dp_op_CI_CI.kd
    .uniform_work_group_size: 1
    .uses_dynamic_stack: false
    .vgpr_count:     256
    .vgpr_spill_count: 106
    .wavefront_size: 64
amdhsa.target:   amdgcn-amd-amdhsa--gfx906
amdhsa.version:
  - 1
  - 2
...

	.end_amdgpu_metadata
